;; amdgpu-corpus repo=ROCm/rocFFT kind=compiled arch=gfx950 opt=O3
	.text
	.amdgcn_target "amdgcn-amd-amdhsa--gfx950"
	.amdhsa_code_object_version 6
	.protected	bluestein_single_back_len765_dim1_sp_op_CI_CI ; -- Begin function bluestein_single_back_len765_dim1_sp_op_CI_CI
	.globl	bluestein_single_back_len765_dim1_sp_op_CI_CI
	.p2align	8
	.type	bluestein_single_back_len765_dim1_sp_op_CI_CI,@function
bluestein_single_back_len765_dim1_sp_op_CI_CI: ; @bluestein_single_back_len765_dim1_sp_op_CI_CI
; %bb.0:
	s_load_dwordx4 s[8:11], s[0:1], 0x28
	v_mul_u32_u24_e32 v1, 0x506, v0
	v_lshrrev_b32_e32 v2, 16, v1
	v_mad_u64_u32 v[92:93], s[2:3], s2, 5, v[2:3]
	v_mov_b32_e32 v217, 0
	v_mov_b32_e32 v93, v217
	s_waitcnt lgkmcnt(0)
	v_cmp_gt_u64_e32 vcc, s[8:9], v[92:93]
	s_and_saveexec_b64 s[2:3], vcc
	s_cbranch_execz .LBB0_15
; %bb.1:
	v_mul_lo_u16_e32 v1, 51, v2
	s_mov_b32 s2, 0xcccccccd
	v_sub_u16_e32 v216, v0, v1
	v_mul_hi_u32 v0, v92, s2
	s_load_dwordx2 s[8:9], s[0:1], 0x0
	s_load_dwordx2 s[12:13], s[0:1], 0x38
	v_lshrrev_b32_e32 v0, 2, v0
	v_lshl_add_u32 v0, v0, 2, v0
	v_sub_u32_e32 v0, v92, v0
	v_mul_u32_u24_e32 v90, 0x2fd, v0
	v_cmp_gt_u16_e64 s[2:3], 45, v216
	v_lshlrev_b32_e32 v94, 3, v216
	v_lshlrev_b32_e32 v148, 3, v90
	s_and_saveexec_b64 s[14:15], s[2:3]
	s_cbranch_execz .LBB0_3
; %bb.2:
	s_load_dwordx2 s[4:5], s[0:1], 0x18
	v_mov_b32_e32 v0, s10
	v_mov_b32_e32 v1, s11
	;; [unrolled: 1-line block ×4, first 2 shown]
	s_waitcnt lgkmcnt(0)
	s_load_dwordx4 s[4:7], s[4:5], 0x0
	s_waitcnt lgkmcnt(0)
	v_mad_u64_u32 v[2:3], s[10:11], s6, v92, 0
	v_mad_u64_u32 v[4:5], s[10:11], s4, v216, 0
	v_mov_b32_e32 v6, v3
	v_mov_b32_e32 v8, v5
	v_mad_u64_u32 v[6:7], s[6:7], s7, v92, v[6:7]
	v_mov_b32_e32 v3, v6
	v_mad_u64_u32 v[6:7], s[6:7], s5, v216, v[8:9]
	v_mov_b32_e32 v5, v6
	v_lshl_add_u64 v[0:1], v[2:3], 3, v[0:1]
	v_lshl_add_u64 v[0:1], v[4:5], 3, v[0:1]
	global_load_dwordx2 v[2:3], v[0:1], off
	v_mad_u64_u32 v[0:1], s[6:7], s4, v68, v[0:1]
	s_mulk_i32 s5, 0x168
	v_add_u32_e32 v1, s5, v1
	v_mad_u64_u32 v[6:7], s[6:7], s4, v68, v[0:1]
	v_add_u32_e32 v7, s5, v7
	v_mad_u64_u32 v[14:15], s[6:7], s4, v68, v[6:7]
	;; [unrolled: 2-line block ×3, first 2 shown]
	v_add_u32_e32 v17, s5, v17
	global_load_dwordx2 v[8:9], v94, s[8:9]
	global_load_dwordx2 v[10:11], v94, s[8:9] offset:360
	global_load_dwordx2 v[12:13], v94, s[8:9] offset:720
	v_lshl_add_u64 v[4:5], s[8:9], 0, v[94:95]
	global_load_dwordx2 v[0:1], v[0:1], off
	s_nop 0
	global_load_dwordx2 v[18:19], v[6:7], off
	global_load_dwordx2 v[20:21], v[14:15], off
	;; [unrolled: 1-line block ×3, first 2 shown]
	v_mad_u64_u32 v[6:7], s[6:7], s4, v68, v[16:17]
	v_add_u32_e32 v7, s5, v7
	global_load_dwordx2 v[14:15], v[6:7], off
	global_load_dwordx2 v[16:17], v94, s[8:9] offset:1080
	v_mad_u64_u32 v[6:7], s[6:7], s4, v68, v[6:7]
	v_add_u32_e32 v7, s5, v7
	global_load_dwordx2 v[24:25], v94, s[8:9] offset:1440
	global_load_dwordx2 v[26:27], v[6:7], off
	global_load_dwordx2 v[28:29], v94, s[8:9] offset:1800
	global_load_dwordx2 v[30:31], v94, s[8:9] offset:2160
	v_mad_u64_u32 v[6:7], s[6:7], s4, v68, v[6:7]
	v_add_u32_e32 v7, s5, v7
	global_load_dwordx2 v[32:33], v[6:7], off
	v_mad_u64_u32 v[6:7], s[6:7], s4, v68, v[6:7]
	v_add_u32_e32 v7, s5, v7
	global_load_dwordx2 v[34:35], v[6:7], off
	v_mad_u64_u32 v[6:7], s[6:7], s4, v68, v[6:7]
	v_add_u32_e32 v7, s5, v7
	global_load_dwordx2 v[36:37], v94, s[8:9] offset:2520
	global_load_dwordx2 v[38:39], v[6:7], off
	v_mad_u64_u32 v[6:7], s[6:7], s4, v68, v[6:7]
	v_add_u32_e32 v7, s5, v7
	global_load_dwordx2 v[40:41], v94, s[8:9] offset:2880
	global_load_dwordx2 v[42:43], v[6:7], off
	global_load_dwordx2 v[44:45], v94, s[8:9] offset:3240
	global_load_dwordx2 v[46:47], v94, s[8:9] offset:3600
	v_mad_u64_u32 v[6:7], s[6:7], s4, v68, v[6:7]
	v_add_u32_e32 v7, s5, v7
	global_load_dwordx2 v[48:49], v[6:7], off
	global_load_dwordx2 v[50:51], v94, s[8:9] offset:3960
	v_mad_u64_u32 v[6:7], s[6:7], s4, v68, v[6:7]
	v_add_u32_e32 v7, s5, v7
	s_movk_i32 s6, 0x1000
	global_load_dwordx2 v[52:53], v[6:7], off
	v_add_co_u32_e32 v4, vcc, s6, v4
	v_mad_u64_u32 v[6:7], s[6:7], s4, v68, v[6:7]
	s_nop 0
	v_addc_co_u32_e32 v5, vcc, 0, v5, vcc
	v_add_u32_e32 v7, s5, v7
	global_load_dwordx2 v[54:55], v[4:5], off offset:224
	global_load_dwordx2 v[56:57], v[6:7], off
	global_load_dwordx2 v[58:59], v[4:5], off offset:584
	v_mad_u64_u32 v[6:7], s[6:7], s4, v68, v[6:7]
	v_add_u32_e32 v7, s5, v7
	global_load_dwordx2 v[60:61], v[6:7], off
	global_load_dwordx2 v[62:63], v[4:5], off offset:944
	v_mad_u64_u32 v[6:7], s[6:7], s4, v68, v[6:7]
	v_add_u32_e32 v7, s5, v7
	;; [unrolled: 4-line block ×3, first 2 shown]
	global_load_dwordx2 v[68:69], v[6:7], off
	global_load_dwordx2 v[70:71], v[4:5], off offset:1664
	v_lshl_add_u32 v6, v216, 3, v148
	s_waitcnt vmcnt(32)
	v_mul_f32_e32 v4, v3, v9
	v_fmac_f32_e32 v4, v2, v8
	v_mul_f32_e32 v2, v2, v9
	v_fma_f32 v5, v3, v8, -v2
	s_waitcnt vmcnt(29)
	v_mul_f32_e32 v2, v1, v11
	v_fmac_f32_e32 v2, v0, v10
	v_mul_f32_e32 v0, v0, v11
	v_fma_f32 v3, v1, v10, -v0
	s_waitcnt vmcnt(28)
	v_mul_f32_e32 v0, v19, v13
	v_mul_f32_e32 v1, v18, v13
	ds_write_b64 v6, v[4:5]
	v_add_u32_e32 v4, v148, v94
	v_fmac_f32_e32 v0, v18, v12
	v_fma_f32 v1, v19, v12, -v1
	ds_write2_b64 v4, v[2:3], v[0:1] offset0:45 offset1:90
	s_waitcnt vmcnt(24)
	v_mul_f32_e32 v0, v21, v17
	v_mul_f32_e32 v1, v20, v17
	s_waitcnt vmcnt(23)
	v_mul_f32_e32 v2, v23, v25
	v_mul_f32_e32 v3, v22, v25
	v_fmac_f32_e32 v0, v20, v16
	v_fma_f32 v1, v21, v16, -v1
	v_fmac_f32_e32 v2, v22, v24
	v_fma_f32 v3, v23, v24, -v3
	ds_write2_b64 v4, v[0:1], v[2:3] offset0:135 offset1:180
	s_waitcnt vmcnt(21)
	v_mul_f32_e32 v0, v15, v29
	v_mul_f32_e32 v1, v14, v29
	s_waitcnt vmcnt(20)
	v_mul_f32_e32 v2, v27, v31
	v_mul_f32_e32 v3, v26, v31
	v_fmac_f32_e32 v0, v14, v28
	v_fma_f32 v1, v15, v28, -v1
	v_fmac_f32_e32 v2, v26, v30
	v_fma_f32 v3, v27, v30, -v3
	v_add_u32_e32 v5, 0x400, v4
	ds_write2_b64 v5, v[0:1], v[2:3] offset0:97 offset1:142
	s_waitcnt vmcnt(17)
	v_mul_f32_e32 v0, v33, v37
	v_mul_f32_e32 v1, v32, v37
	s_waitcnt vmcnt(15)
	v_mul_f32_e32 v2, v35, v41
	v_mul_f32_e32 v3, v34, v41
	v_fmac_f32_e32 v0, v32, v36
	v_fma_f32 v1, v33, v36, -v1
	v_fmac_f32_e32 v2, v34, v40
	v_fma_f32 v3, v35, v40, -v3
	v_add_u32_e32 v5, 0x800, v4
	ds_write2_b64 v5, v[0:1], v[2:3] offset0:59 offset1:104
	s_waitcnt vmcnt(13)
	v_mul_f32_e32 v0, v39, v45
	v_mul_f32_e32 v1, v38, v45
	s_waitcnt vmcnt(12)
	v_mul_f32_e32 v2, v43, v47
	v_mul_f32_e32 v3, v42, v47
	v_fmac_f32_e32 v0, v38, v44
	v_fma_f32 v1, v39, v44, -v1
	v_fmac_f32_e32 v2, v42, v46
	v_fma_f32 v3, v43, v46, -v3
	ds_write2_b64 v5, v[0:1], v[2:3] offset0:149 offset1:194
	s_waitcnt vmcnt(10)
	v_mul_f32_e32 v0, v49, v51
	v_mul_f32_e32 v1, v48, v51
	s_waitcnt vmcnt(8)
	v_mul_f32_e32 v2, v53, v55
	v_mul_f32_e32 v3, v52, v55
	v_fmac_f32_e32 v0, v48, v50
	v_fma_f32 v1, v49, v50, -v1
	v_fmac_f32_e32 v2, v52, v54
	v_fma_f32 v3, v53, v54, -v3
	v_add_u32_e32 v5, 0xc00, v4
	ds_write2_b64 v5, v[0:1], v[2:3] offset0:111 offset1:156
	s_waitcnt vmcnt(6)
	v_mul_f32_e32 v0, v57, v59
	v_mul_f32_e32 v1, v56, v59
	s_waitcnt vmcnt(4)
	v_mul_f32_e32 v2, v61, v63
	v_mul_f32_e32 v3, v60, v63
	v_fmac_f32_e32 v0, v56, v58
	v_fma_f32 v1, v57, v58, -v1
	v_fmac_f32_e32 v2, v60, v62
	v_fma_f32 v3, v61, v62, -v3
	v_add_u32_e32 v4, 0x1000, v4
	ds_write2_b64 v4, v[0:1], v[2:3] offset0:73 offset1:118
	s_waitcnt vmcnt(2)
	v_mul_f32_e32 v0, v65, v67
	v_mul_f32_e32 v1, v64, v67
	s_waitcnt vmcnt(0)
	v_mul_f32_e32 v2, v69, v71
	v_mul_f32_e32 v3, v68, v71
	v_fmac_f32_e32 v0, v64, v66
	v_fma_f32 v1, v65, v66, -v1
	v_fmac_f32_e32 v2, v68, v70
	v_fma_f32 v3, v69, v70, -v3
	ds_write2_b64 v4, v[0:1], v[2:3] offset0:163 offset1:208
.LBB0_3:
	s_or_b64 exec, exec, s[14:15]
	s_load_dwordx2 s[4:5], s[0:1], 0x20
	s_load_dwordx2 s[10:11], s[0:1], 0x8
	v_mov_b32_e32 v4, 0
	v_mov_b32_e32 v5, 0
	s_waitcnt lgkmcnt(0)
	s_barrier
	s_waitcnt lgkmcnt(0)
                                        ; implicit-def: $vgpr10
                                        ; implicit-def: $vgpr16
                                        ; implicit-def: $vgpr14
                                        ; implicit-def: $vgpr28
                                        ; implicit-def: $vgpr26
                                        ; implicit-def: $vgpr56
                                        ; implicit-def: $vgpr22
                                        ; implicit-def: $vgpr34
	s_and_saveexec_b64 s[0:1], s[2:3]
	s_cbranch_execz .LBB0_5
; %bb.4:
	v_lshl_add_u32 v0, v90, 3, v94
	v_add_u32_e32 v1, 0x800, v0
	ds_read2_b64 v[4:7], v0 offset1:45
	ds_read2_b64 v[32:35], v0 offset0:90 offset1:135
	ds_read2_b64 v[24:27], v0 offset0:180 offset1:225
	;; [unrolled: 1-line block ×5, first 2 shown]
	v_add_u32_e32 v1, 0x1000, v0
	ds_read2_b64 v[28:31], v1 offset0:28 offset1:73
	ds_read2_b64 v[20:23], v1 offset0:118 offset1:163
	ds_read_b64 v[56:57], v0 offset:5760
.LBB0_5:
	s_or_b64 exec, exec, s[0:1]
	s_mov_b32 s24, 0xbeb8f4ab
	s_waitcnt lgkmcnt(0)
	v_pk_add_f32 v[38:39], v[56:57], v[6:7]
	v_pk_add_f32 v[2:3], v[6:7], v[56:57] neg_lo:[0,1] neg_hi:[0,1]
	s_mov_b32 s25, 0x3f6eb680
	s_mov_b32 s40, 0xbf2c7751
	v_mov_b32_e32 v1, v39
	v_mov_b32_e32 v39, v2
	s_mov_b32 s0, s25
	s_mov_b32 s1, s24
	;; [unrolled: 1-line block ×3, first 2 shown]
	v_pk_mul_f32 v[60:61], v[38:39], s[0:1]
	s_mov_b32 s0, s41
	s_mov_b32 s1, s40
	v_pk_mul_f32 v[64:65], v[38:39], s[0:1]
	s_mov_b32 s0, 0xbf7ee86f
	v_pk_add_f32 v[48:49], v[22:23], v[32:33]
	v_pk_add_f32 v[66:67], v[32:33], v[22:23] neg_lo:[0,1] neg_hi:[0,1]
	s_mov_b32 s1, 0x3dbcf732
	v_mov_b32_e32 v0, v3
	v_mov_b32_e32 v46, v48
	;; [unrolled: 1-line block ×3, first 2 shown]
	s_mov_b32 s48, s1
	s_mov_b32 s49, s0
	v_pk_fma_f32 v[58:59], v[0:1], s[24:25], v[60:61]
	v_pk_fma_f32 v[2:3], v[0:1], s[24:25], v[60:61] neg_lo:[0,0,1] neg_hi:[0,0,1]
	v_pk_fma_f32 v[62:63], v[0:1], s[40:41], v[64:65]
	v_pk_fma_f32 v[50:51], v[0:1], s[40:41], v[64:65] neg_lo:[0,0,1] neg_hi:[0,0,1]
	v_mov_b32_e32 v36, v67
	v_mov_b32_e32 v37, v49
	v_pk_mul_f32 v[82:83], v[46:47], s[48:49]
	s_mov_b32 s6, s41
	v_pk_mul_f32 v[54:55], v[66:67], s[40:41] op_sel:[1,0] op_sel_hi:[0,0]
	v_pk_fma_f32 v[80:81], v[36:37], s[0:1], v[82:83]
	v_pk_fma_f32 v[52:53], v[36:37], s[0:1], v[82:83] neg_lo:[0,0,1] neg_hi:[0,0,1]
	v_mov_b32_e32 v2, v58
	v_mov_b32_e32 v50, v62
	v_pk_fma_f32 v[96:97], v[48:49], s[6:7], v[54:55] op_sel_hi:[1,0,1]
	v_pk_fma_f32 v[98:99], v[48:49], s[6:7], v[54:55] op_sel_hi:[1,0,1] neg_lo:[0,0,1] neg_hi:[0,0,1]
	v_pk_add_f32 v[44:45], v[34:35], v[20:21] neg_lo:[0,1] neg_hi:[0,1]
	v_pk_add_f32 v[2:3], v[2:3], v[4:5]
	v_pk_add_f32 v[50:51], v[50:51], v[4:5]
	v_mov_b32_e32 v48, v96
	v_mov_b32_e32 v49, v99
	;; [unrolled: 1-line block ×3, first 2 shown]
	s_mov_b32 s6, 0xbf65296c
	v_pk_add_f32 v[42:43], v[20:21], v[34:35]
	v_pk_add_f32 v[2:3], v[48:49], v[2:3]
	;; [unrolled: 1-line block ×3, first 2 shown]
	s_mov_b32 s28, 0x3ee437d1
	v_pk_mul_f32 v[50:51], v[44:45], s[6:7] op_sel_hi:[1,0]
	s_mov_b32 s14, 0xbf4c4adb
	v_pk_fma_f32 v[104:105], v[42:43], s[28:29], v[50:51] op_sel:[0,0,1] op_sel_hi:[1,0,0]
	v_pk_fma_f32 v[106:107], v[42:43], s[28:29], v[50:51] op_sel:[0,0,1] op_sel_hi:[1,0,0] neg_lo:[0,0,1] neg_hi:[0,0,1]
	v_mov_b32_e32 v50, v104
	v_mov_b32_e32 v51, v107
	v_pk_add_f32 v[2:3], v[50:51], v[2:3]
	s_mov_b32 s30, 0xbf1a4643
	v_pk_mul_f32 v[50:51], v[44:45], s[14:15] op_sel_hi:[1,0]
	v_pk_add_f32 v[68:69], v[24:25], v[30:31] neg_lo:[0,1] neg_hi:[0,1]
	v_pk_fma_f32 v[84:85], v[42:43], s[30:31], v[50:51] op_sel:[0,0,1] op_sel_hi:[1,0,0]
	v_pk_fma_f32 v[86:87], v[42:43], s[30:31], v[50:51] op_sel:[0,0,1] op_sel_hi:[1,0,0] neg_lo:[0,0,1] neg_hi:[0,0,1]
	v_mov_b32_e32 v50, v84
	v_mov_b32_e32 v51, v87
	v_pk_add_f32 v[40:41], v[30:31], v[24:25]
	v_pk_add_f32 v[48:49], v[50:51], v[48:49]
	s_mov_b32 s16, s1
	v_pk_mul_f32 v[50:51], v[68:69], s[0:1] op_sel:[1,0] op_sel_hi:[0,0]
	v_pk_fma_f32 v[108:109], v[40:41], s[16:17], v[50:51] op_sel_hi:[1,0,1]
	v_pk_fma_f32 v[110:111], v[40:41], s[16:17], v[50:51] op_sel_hi:[1,0,1] neg_lo:[0,0,1] neg_hi:[0,0,1]
	v_mov_b32_e32 v50, v108
	v_mov_b32_e32 v51, v111
	s_mov_b32 s16, 0xbe3c28d5
	v_pk_add_f32 v[2:3], v[50:51], v[2:3]
	s_mov_b32 s42, 0xbf7ba420
	v_pk_mul_f32 v[50:51], v[68:69], s[16:17] op_sel:[1,0] op_sel_hi:[0,0]
	v_pk_fma_f32 v[100:101], v[40:41], s[42:43], v[50:51] op_sel_hi:[1,0,1]
	v_pk_fma_f32 v[102:103], v[40:41], s[42:43], v[50:51] op_sel_hi:[1,0,1] neg_lo:[0,0,1] neg_hi:[0,0,1]
	v_mov_b32_e32 v50, v100
	v_mov_b32_e32 v51, v103
	s_mov_b32 s20, 0xbf763a35
	v_pk_add_f32 v[70:71], v[26:27], v[28:29] neg_lo:[0,1] neg_hi:[0,1]
	v_pk_add_f32 v[50:51], v[50:51], v[48:49]
	v_pk_add_f32 v[48:49], v[28:29], v[26:27]
	s_mov_b32 s38, 0xbe8c1d8e
	v_pk_mul_f32 v[52:53], v[70:71], s[20:21] op_sel:[1,0] op_sel_hi:[0,0]
	v_pk_fma_f32 v[120:121], v[48:49], s[38:39], v[52:53] op_sel_hi:[1,0,1]
	v_pk_fma_f32 v[122:123], v[48:49], s[38:39], v[52:53] op_sel_hi:[1,0,1] neg_lo:[0,0,1] neg_hi:[0,0,1]
	v_mov_b32_e32 v52, v120
	v_mov_b32_e32 v53, v123
	s_mov_b32 s22, 0x3f06c442
	v_pk_add_f32 v[2:3], v[52:53], v[2:3]
	s_mov_b32 s44, 0xbf59a7d5
	v_pk_mul_f32 v[52:53], v[70:71], s[22:23] op_sel:[1,0] op_sel_hi:[0,0]
	v_pk_fma_f32 v[112:113], v[48:49], s[44:45], v[52:53] op_sel_hi:[1,0,1]
	v_pk_fma_f32 v[114:115], v[48:49], s[44:45], v[52:53] op_sel_hi:[1,0,1] neg_lo:[0,0,1] neg_hi:[0,0,1]
	v_mov_b32_e32 v52, v112
	v_mov_b32_e32 v53, v115
	v_pk_add_f32 v[72:73], v[12:13], v[18:19] neg_lo:[0,1] neg_hi:[0,1]
	v_pk_add_f32 v[52:53], v[52:53], v[50:51]
	v_pk_add_f32 v[50:51], v[18:19], v[12:13]
	v_pk_mul_f32 v[54:55], v[72:73], s[14:15] op_sel:[1,0] op_sel_hi:[0,0]
	v_pk_fma_f32 v[128:129], v[50:51], s[30:31], v[54:55] op_sel_hi:[1,0,1]
	v_pk_fma_f32 v[130:131], v[50:51], s[30:31], v[54:55] op_sel_hi:[1,0,1] neg_lo:[0,0,1] neg_hi:[0,0,1]
	v_mov_b32_e32 v54, v128
	v_mov_b32_e32 v55, v131
	s_mov_b32 s26, 0x3f763a35
	v_pk_add_f32 v[2:3], v[54:55], v[2:3]
	v_pk_mul_f32 v[54:55], v[72:73], s[26:27] op_sel:[1,0] op_sel_hi:[0,0]
	v_pk_fma_f32 v[116:117], v[50:51], s[38:39], v[54:55] op_sel_hi:[1,0,1]
	v_pk_fma_f32 v[118:119], v[50:51], s[38:39], v[54:55] op_sel_hi:[1,0,1] neg_lo:[0,0,1] neg_hi:[0,0,1]
	v_mov_b32_e32 v54, v116
	v_mov_b32_e32 v55, v119
	s_mov_b32 s34, 0xbf06c442
	v_pk_add_f32 v[144:145], v[14:15], v[16:17] neg_lo:[0,1] neg_hi:[0,1]
	v_pk_add_f32 v[54:55], v[54:55], v[52:53]
	v_pk_add_f32 v[52:53], v[16:17], v[14:15]
	v_pk_mul_f32 v[74:75], v[144:145], s[34:35] op_sel:[1,0] op_sel_hi:[0,0]
	v_pk_fma_f32 v[136:137], v[52:53], s[44:45], v[74:75] op_sel_hi:[1,0,1]
	v_pk_fma_f32 v[138:139], v[52:53], s[44:45], v[74:75] op_sel_hi:[1,0,1] neg_lo:[0,0,1] neg_hi:[0,0,1]
	v_mov_b32_e32 v74, v136
	v_mov_b32_e32 v75, v139
	s_mov_b32 s36, 0x3f65296c
	v_pk_add_f32 v[2:3], v[74:75], v[2:3]
	v_pk_mul_f32 v[74:75], v[144:145], s[36:37] op_sel:[1,0] op_sel_hi:[0,0]
	v_pk_fma_f32 v[124:125], v[52:53], s[28:29], v[74:75] op_sel_hi:[1,0,1]
	v_pk_fma_f32 v[126:127], v[52:53], s[28:29], v[74:75] op_sel_hi:[1,0,1] neg_lo:[0,0,1] neg_hi:[0,0,1]
	v_mov_b32_e32 v74, v124
	v_mov_b32_e32 v75, v127
	v_pk_add_f32 v[146:147], v[8:9], v[10:11] neg_lo:[0,1] neg_hi:[0,1]
	v_pk_add_f32 v[74:75], v[74:75], v[54:55]
	v_pk_add_f32 v[54:55], v[10:11], v[8:9]
	v_pk_mul_f32 v[76:77], v[146:147], s[16:17] op_sel:[1,0] op_sel_hi:[0,0]
	v_pk_fma_f32 v[140:141], v[54:55], s[42:43], v[76:77] op_sel_hi:[1,0,1]
	v_pk_fma_f32 v[142:143], v[54:55], s[42:43], v[76:77] op_sel_hi:[1,0,1] neg_lo:[0,0,1] neg_hi:[0,0,1]
	v_mov_b32_e32 v76, v140
	v_mov_b32_e32 v77, v143
	s_mov_b32 s46, 0x3eb8f4ab
	v_pk_add_f32 v[214:215], v[76:77], v[2:3]
	s_mov_b32 s18, s25
	v_pk_mul_f32 v[2:3], v[146:147], s[46:47] op_sel:[1,0] op_sel_hi:[0,0]
	v_pk_fma_f32 v[132:133], v[54:55], s[18:19], v[2:3] op_sel_hi:[1,0,1]
	v_pk_fma_f32 v[134:135], v[54:55], s[18:19], v[2:3] op_sel_hi:[1,0,1] neg_lo:[0,0,1] neg_hi:[0,0,1]
	v_mov_b32_e32 v2, v132
	v_mov_b32_e32 v3, v135
	v_pk_add_f32 v[2:3], v[2:3], v[74:75]
	v_mul_lo_u16_e32 v149, 17, v216
	s_barrier
	s_and_saveexec_b64 s[18:19], s[2:3]
	s_cbranch_execz .LBB0_7
; %bb.6:
	v_pk_add_f32 v[6:7], v[6:7], v[4:5]
	v_mov_b32_e32 v99, v97
	v_pk_add_f32 v[6:7], v[32:33], v[6:7]
	v_mov_b32_e32 v107, v105
	;; [unrolled: 2-line block ×6, first 2 shown]
	v_pk_add_f32 v[6:7], v[14:15], v[6:7]
	v_pk_mul_f32 v[12:13], v[36:37], s[0:1]
	v_pk_add_f32 v[6:7], v[8:9], v[6:7]
	v_pk_mul_f32 v[8:9], v[0:1], s[24:25]
	;; [unrolled: 2-line block ×3, first 2 shown]
	v_pk_add_f32 v[6:7], v[16:17], v[6:7]
	v_mov_b32_e32 v143, v141
	v_pk_add_f32 v[6:7], v[18:19], v[6:7]
	v_pk_add_f32 v[18:19], v[64:65], v[10:11] neg_lo:[0,1] neg_hi:[0,1]
	v_pk_add_f32 v[6:7], v[28:29], v[6:7]
	v_mov_b32_e32 v19, v63
	v_pk_add_f32 v[6:7], v[30:31], v[6:7]
	v_add_lshl_u32 v89, v90, v149, 3
	v_pk_add_f32 v[6:7], v[20:21], v[6:7]
	v_pk_add_f32 v[20:21], v[82:83], v[12:13] neg_lo:[0,1] neg_hi:[0,1]
	v_pk_add_f32 v[16:17], v[22:23], v[6:7]
	v_pk_add_f32 v[22:23], v[60:61], v[8:9] neg_lo:[0,1] neg_hi:[0,1]
	v_pk_add_f32 v[16:17], v[56:57], v[16:17]
	v_mov_b32_e32 v23, v59
	v_pk_add_f32 v[22:23], v[22:23], v[4:5]
	v_mov_b32_e32 v21, v81
	;; [unrolled: 2-line block ×5, first 2 shown]
	v_pk_add_f32 v[22:23], v[122:123], v[22:23]
	s_mov_b32 s29, s36
	v_pk_add_f32 v[22:23], v[130:131], v[22:23]
	v_mov_b32_e32 v119, v117
	v_pk_add_f32 v[22:23], v[138:139], v[22:23]
	v_mov_b32_e32 v108, v67
	v_pk_add_f32 v[22:23], v[142:143], v[22:23]
	ds_write2_b64 v89, v[16:17], v[22:23] offset1:1
	v_pk_add_f32 v[16:17], v[18:19], v[4:5]
	v_pk_mul_f32 v[66:67], v[46:47], s[28:29]
	v_pk_add_f32 v[16:17], v[20:21], v[16:17]
	s_mov_b32 s29, s6
	v_pk_add_f32 v[16:17], v[86:87], v[16:17]
	v_mov_b32_e32 v127, v125
	v_pk_add_f32 v[16:17], v[102:103], v[16:17]
	v_pk_mul_f32 v[8:9], v[38:39], s[28:29]
	v_pk_add_f32 v[16:17], v[114:115], v[16:17]
	s_mov_b32 s7, s28
	v_pk_add_f32 v[16:17], v[118:119], v[16:17]
	v_mov_b32_e32 v135, v133
	v_pk_add_f32 v[16:17], v[126:127], v[16:17]
	s_mov_b32 s31, s14
	v_pk_add_f32 v[80:81], v[134:135], v[16:17]
	v_pk_fma_f32 v[18:19], v[0:1], s[6:7], v[8:9] neg_lo:[1,0,0] neg_hi:[1,0,0]
	v_pk_fma_f32 v[16:17], v[0:1], s[6:7], v[8:9]
	s_mov_b32 s15, s30
	v_pk_mul_f32 v[6:7], v[46:47], s[30:31]
	v_mov_b32_e32 v19, v17
	v_pk_add_f32 v[20:21], v[18:19], v[4:5]
	v_pk_fma_f32 v[22:23], v[108:109], s[14:15], v[6:7] neg_lo:[1,0,0] neg_hi:[1,0,0]
	v_pk_fma_f32 v[18:19], v[36:37], s[14:15], v[6:7]
	v_pk_mul_f32 v[12:13], v[38:39], s[48:49]
	v_mov_b32_e32 v23, v19
	s_mov_b32 s48, 0x3e3c28d5
	s_mov_b32 s43, s16
	v_pk_add_f32 v[24:25], v[22:23], v[20:21]
	v_pk_mul_f32 v[22:23], v[44:45], s[48:49] op_sel_hi:[1,0]
	v_mov_b32_e32 v78, v69
	v_pk_fma_f32 v[20:21], v[42:43], s[42:43], v[22:23] op_sel:[0,0,1] op_sel_hi:[1,0,0] neg_lo:[0,0,1] neg_hi:[0,0,1]
	v_pk_fma_f32 v[22:23], v[42:43], s[42:43], v[22:23] op_sel:[0,0,1] op_sel_hi:[1,0,0]
	v_mov_b32_e32 v79, v68
	s_mov_b32 s39, s26
	s_mov_b32 s27, s38
	v_mov_b32_e32 v26, v20
	v_mov_b32_e32 v27, v23
	v_pk_mul_f32 v[32:33], v[46:47], s[38:39]
	s_mov_b32 s39, s20
	v_pk_add_f32 v[28:29], v[26:27], v[24:25]
	v_pk_mul_f32 v[26:27], v[78:79], s[26:27] op_sel_hi:[1,0]
	v_mov_b32_e32 v76, v71
	v_pk_fma_f32 v[24:25], v[40:41], s[38:39], v[26:27] op_sel_hi:[1,0,1] neg_lo:[0,0,1] neg_hi:[0,0,1]
	v_pk_fma_f32 v[26:27], v[40:41], s[38:39], v[26:27] op_sel_hi:[1,0,1]
	v_mov_b32_e32 v77, v70
	v_mov_b32_e32 v30, v24
	;; [unrolled: 1-line block ×3, first 2 shown]
	s_mov_b32 s52, 0x3f2c7751
	v_pk_add_f32 v[34:35], v[30:31], v[28:29]
	s_mov_b32 s50, s41
	v_pk_mul_f32 v[30:31], v[76:77], s[52:53] op_sel_hi:[1,0]
	v_mov_b32_e32 v74, v73
	v_pk_fma_f32 v[28:29], v[48:49], s[50:51], v[30:31] op_sel_hi:[1,0,1] neg_lo:[0,0,1] neg_hi:[0,0,1]
	v_pk_fma_f32 v[30:31], v[48:49], s[50:51], v[30:31] op_sel_hi:[1,0,1]
	v_mov_b32_e32 v75, v72
	v_mov_b32_e32 v56, v28
	;; [unrolled: 1-line block ×3, first 2 shown]
	v_pk_add_f32 v[58:59], v[56:57], v[34:35]
	s_mov_b32 s54, s25
	v_pk_mul_f32 v[56:57], v[74:75], s[24:25] op_sel_hi:[1,0]
	v_mov_b32_e32 v72, v145
	v_pk_fma_f32 v[34:35], v[50:51], s[54:55], v[56:57] op_sel_hi:[1,0,1] neg_lo:[0,0,1] neg_hi:[0,0,1]
	v_pk_fma_f32 v[56:57], v[50:51], s[54:55], v[56:57] op_sel_hi:[1,0,1]
	v_mov_b32_e32 v73, v144
	v_mov_b32_e32 v60, v34
	;; [unrolled: 1-line block ×3, first 2 shown]
	v_pk_add_f32 v[62:63], v[60:61], v[58:59]
	s_mov_b32 s48, s1
	v_pk_mul_f32 v[60:61], v[72:73], s[0:1] op_sel_hi:[1,0]
	v_mov_b32_e32 v70, v147
	v_pk_fma_f32 v[58:59], v[52:53], s[48:49], v[60:61] op_sel_hi:[1,0,1] neg_lo:[0,0,1] neg_hi:[0,0,1]
	v_pk_fma_f32 v[60:61], v[52:53], s[48:49], v[60:61] op_sel_hi:[1,0,1]
	v_mov_b32_e32 v71, v146
	s_mov_b32 s45, s34
	s_mov_b32 s35, s44
	v_mov_b32_e32 v64, v58
	v_mov_b32_e32 v65, v61
	v_pk_mul_f32 v[68:69], v[38:39], s[44:45]
	s_mov_b32 s45, s22
	v_pk_add_f32 v[82:83], v[64:65], v[62:63]
	v_pk_mul_f32 v[64:65], v[70:71], s[34:35] op_sel_hi:[1,0]
	s_mov_b32 s17, s42
	v_pk_fma_f32 v[62:63], v[54:55], s[44:45], v[64:65] op_sel_hi:[1,0,1] neg_lo:[0,0,1] neg_hi:[0,0,1]
	v_pk_fma_f32 v[64:65], v[54:55], s[44:45], v[64:65] op_sel_hi:[1,0,1]
	v_mov_b32_e32 v84, v62
	v_mov_b32_e32 v85, v65
	v_pk_add_f32 v[82:83], v[84:85], v[82:83]
	ds_write2_b64 v89, v[80:81], v[82:83] offset0:2 offset1:3
	v_pk_fma_f32 v[82:83], v[0:1], s[0:1], v[12:13] neg_lo:[1,0,0] neg_hi:[1,0,0]
	v_pk_fma_f32 v[80:81], v[0:1], s[0:1], v[12:13]
	v_pk_mul_f32 v[10:11], v[46:47], s[42:43]
	v_mov_b32_e32 v83, v81
	v_pk_add_f32 v[84:85], v[82:83], v[4:5]
	v_pk_fma_f32 v[86:87], v[108:109], s[16:17], v[10:11] neg_lo:[1,0,0] neg_hi:[1,0,0]
	v_pk_fma_f32 v[82:83], v[36:37], s[16:17], v[10:11]
	s_mov_b32 s47, s25
	v_mov_b32_e32 v87, v83
	v_pk_add_f32 v[96:97], v[86:87], v[84:85]
	v_pk_mul_f32 v[86:87], v[44:45], s[26:27] op_sel_hi:[1,0]
	s_mov_b32 s58, 0x3f4c4adb
	v_pk_fma_f32 v[84:85], v[42:43], s[38:39], v[86:87] op_sel:[0,0,1] op_sel_hi:[1,0,0] neg_lo:[0,0,1] neg_hi:[0,0,1]
	v_pk_fma_f32 v[86:87], v[42:43], s[38:39], v[86:87] op_sel:[0,0,1] op_sel_hi:[1,0,0]
	v_mov_b32_e32 v98, v84
	v_mov_b32_e32 v99, v87
	v_pk_add_f32 v[100:101], v[98:99], v[96:97]
	v_pk_mul_f32 v[98:99], v[78:79], s[46:47] op_sel_hi:[1,0]
	v_pk_mul_f32 v[14:15], v[38:39], s[38:39]
	v_pk_fma_f32 v[96:97], v[40:41], s[54:55], v[98:99] op_sel_hi:[1,0,1] neg_lo:[0,0,1] neg_hi:[0,0,1]
	v_pk_fma_f32 v[98:99], v[40:41], s[54:55], v[98:99] op_sel_hi:[1,0,1]
	v_mov_b32_e32 v102, v96
	v_mov_b32_e32 v103, v99
	v_pk_add_f32 v[104:105], v[102:103], v[100:101]
	v_pk_mul_f32 v[102:103], v[76:77], s[6:7] op_sel_hi:[1,0]
	s_mov_b32 s21, s38
	v_pk_fma_f32 v[100:101], v[48:49], s[28:29], v[102:103] op_sel_hi:[1,0,1] neg_lo:[0,0,1] neg_hi:[0,0,1]
	v_pk_fma_f32 v[102:103], v[48:49], s[28:29], v[102:103] op_sel_hi:[1,0,1]
	v_mov_b32_e32 v106, v100
	v_mov_b32_e32 v107, v103
	v_pk_add_f32 v[110:111], v[106:107], v[104:105]
	v_pk_mul_f32 v[106:107], v[74:75], s[34:35] op_sel_hi:[1,0]
	s_mov_b32 s23, s44
	v_pk_fma_f32 v[104:105], v[50:51], s[44:45], v[106:107] op_sel_hi:[1,0,1] neg_lo:[0,0,1] neg_hi:[0,0,1]
	v_pk_fma_f32 v[106:107], v[50:51], s[44:45], v[106:107] op_sel_hi:[1,0,1]
	v_mov_b32_e32 v112, v104
	v_mov_b32_e32 v113, v107
	v_pk_add_f32 v[114:115], v[112:113], v[110:111]
	v_pk_mul_f32 v[112:113], v[72:73], s[58:59] op_sel_hi:[1,0]
	v_pk_mul_f32 v[122:123], v[46:47], s[44:45]
	v_pk_fma_f32 v[110:111], v[52:53], s[30:31], v[112:113] op_sel_hi:[1,0,1] neg_lo:[0,0,1] neg_hi:[0,0,1]
	v_pk_fma_f32 v[112:113], v[52:53], s[30:31], v[112:113] op_sel_hi:[1,0,1]
	v_mov_b32_e32 v116, v110
	v_mov_b32_e32 v117, v113
	v_pk_add_f32 v[118:119], v[116:117], v[114:115]
	v_pk_mul_f32 v[116:117], v[70:71], s[52:53] op_sel_hi:[1,0]
	v_pk_fma_f32 v[126:127], v[108:109], s[22:23], v[122:123] neg_lo:[1,0,0] neg_hi:[1,0,0]
	v_pk_fma_f32 v[114:115], v[54:55], s[50:51], v[116:117] op_sel_hi:[1,0,1] neg_lo:[0,0,1] neg_hi:[0,0,1]
	v_pk_fma_f32 v[116:117], v[54:55], s[50:51], v[116:117] op_sel_hi:[1,0,1]
	v_mov_b32_e32 v120, v114
	v_mov_b32_e32 v121, v117
	v_pk_add_f32 v[150:151], v[120:121], v[118:119]
	v_pk_fma_f32 v[120:121], v[0:1], s[20:21], v[14:15] neg_lo:[1,0,0] neg_hi:[1,0,0]
	v_pk_fma_f32 v[118:119], v[0:1], s[20:21], v[14:15]
	s_mov_b32 s56, 0x3f7ee86f
	v_mov_b32_e32 v121, v119
	v_pk_add_f32 v[124:125], v[120:121], v[4:5]
	v_pk_fma_f32 v[120:121], v[36:37], s[22:23], v[122:123]
	v_pk_fma_f32 v[156:157], v[108:109], s[26:27], v[32:33] neg_lo:[1,0,0] neg_hi:[1,0,0]
	v_mov_b32_e32 v127, v121
	v_pk_add_f32 v[128:129], v[126:127], v[124:125]
	v_pk_mul_f32 v[126:127], v[44:45], s[52:53] op_sel_hi:[1,0]
	v_pk_fma_f32 v[158:159], v[36:37], s[26:27], v[32:33]
	v_pk_fma_f32 v[124:125], v[42:43], s[50:51], v[126:127] op_sel:[0,0,1] op_sel_hi:[1,0,0] neg_lo:[0,0,1] neg_hi:[0,0,1]
	v_pk_fma_f32 v[126:127], v[42:43], s[50:51], v[126:127] op_sel:[0,0,1] op_sel_hi:[1,0,0]
	v_mov_b32_e32 v130, v124
	v_mov_b32_e32 v131, v127
	v_pk_add_f32 v[132:133], v[130:131], v[128:129]
	v_pk_mul_f32 v[130:131], v[78:79], s[6:7] op_sel_hi:[1,0]
	v_mov_b32_e32 v157, v159
	v_pk_fma_f32 v[128:129], v[40:41], s[28:29], v[130:131] op_sel_hi:[1,0,1] neg_lo:[0,0,1] neg_hi:[0,0,1]
	v_pk_fma_f32 v[130:131], v[40:41], s[28:29], v[130:131] op_sel_hi:[1,0,1]
	v_mov_b32_e32 v134, v128
	v_mov_b32_e32 v135, v131
	v_pk_add_f32 v[136:137], v[134:135], v[132:133]
	v_pk_mul_f32 v[134:135], v[76:77], s[16:17] op_sel_hi:[1,0]
	s_mov_b32 s37, s28
	v_pk_fma_f32 v[132:133], v[48:49], s[42:43], v[134:135] op_sel_hi:[1,0,1] neg_lo:[0,0,1] neg_hi:[0,0,1]
	v_pk_fma_f32 v[134:135], v[48:49], s[42:43], v[134:135] op_sel_hi:[1,0,1]
	v_mov_b32_e32 v138, v132
	v_mov_b32_e32 v139, v135
	v_pk_add_f32 v[140:141], v[138:139], v[136:137]
	v_pk_mul_f32 v[138:139], v[74:75], s[56:57] op_sel_hi:[1,0]
	v_pk_fma_f32 v[184:185], v[0:1], s[34:35], v[68:69]
	v_pk_fma_f32 v[136:137], v[50:51], s[48:49], v[138:139] op_sel_hi:[1,0,1] neg_lo:[0,0,1] neg_hi:[0,0,1]
	v_pk_fma_f32 v[138:139], v[50:51], s[48:49], v[138:139] op_sel_hi:[1,0,1]
	v_mov_b32_e32 v142, v136
	v_mov_b32_e32 v143, v139
	v_pk_add_f32 v[144:145], v[142:143], v[140:141]
	v_pk_mul_f32 v[142:143], v[72:73], s[24:25] op_sel_hi:[1,0]
	v_pk_fma_f32 v[186:187], v[108:109], s[36:37], v[66:67] neg_lo:[1,0,0] neg_hi:[1,0,0]
	v_pk_fma_f32 v[140:141], v[52:53], s[54:55], v[142:143] op_sel_hi:[1,0,1] neg_lo:[0,0,1] neg_hi:[0,0,1]
	v_pk_fma_f32 v[142:143], v[52:53], s[54:55], v[142:143] op_sel_hi:[1,0,1]
	v_mov_b32_e32 v146, v140
	v_mov_b32_e32 v147, v143
	v_pk_add_f32 v[152:153], v[146:147], v[144:145]
	v_pk_mul_f32 v[146:147], v[70:71], s[14:15] op_sel_hi:[1,0]
	v_pk_fma_f32 v[188:189], v[36:37], s[36:37], v[66:67]
	v_pk_fma_f32 v[144:145], v[54:55], s[30:31], v[146:147] op_sel_hi:[1,0,1] neg_lo:[0,0,1] neg_hi:[0,0,1]
	v_pk_fma_f32 v[146:147], v[54:55], s[30:31], v[146:147] op_sel_hi:[1,0,1]
	v_mov_b32_e32 v154, v144
	v_mov_b32_e32 v155, v147
	v_pk_add_f32 v[152:153], v[154:155], v[152:153]
	ds_write2_b64 v89, v[150:151], v[152:153] offset0:4 offset1:5
	v_pk_mul_f32 v[150:151], v[38:39], s[30:31]
	v_mov_b32_e32 v187, v189
	v_pk_fma_f32 v[152:153], v[0:1], s[14:15], v[150:151] neg_lo:[1,0,0] neg_hi:[1,0,0]
	v_pk_fma_f32 v[154:155], v[0:1], s[14:15], v[150:151]
	v_pk_mul_f32 v[38:39], v[38:39], s[42:43]
	v_mov_b32_e32 v153, v155
	v_pk_add_f32 v[152:153], v[152:153], v[4:5]
	v_pk_fma_f32 v[32:33], v[36:37], s[26:27], v[32:33] neg_lo:[0,0,1] neg_hi:[0,0,1]
	v_pk_add_f32 v[152:153], v[156:157], v[152:153]
	v_pk_mul_f32 v[156:157], v[44:45], s[24:25] op_sel_hi:[1,0]
	v_mov_b32_e32 v159, v33
	v_pk_fma_f32 v[160:161], v[42:43], s[54:55], v[156:157] op_sel:[0,0,1] op_sel_hi:[1,0,0] neg_lo:[0,0,1] neg_hi:[0,0,1]
	v_pk_fma_f32 v[156:157], v[42:43], s[54:55], v[156:157] op_sel:[0,0,1] op_sel_hi:[1,0,0]
	v_mov_b32_e32 v162, v160
	v_mov_b32_e32 v163, v157
	v_pk_add_f32 v[152:153], v[162:163], v[152:153]
	v_pk_mul_f32 v[162:163], v[78:79], s[34:35] op_sel_hi:[1,0]
	v_mov_b32_e32 v157, v161
	v_pk_fma_f32 v[164:165], v[40:41], s[44:45], v[162:163] op_sel_hi:[1,0,1] neg_lo:[0,0,1] neg_hi:[0,0,1]
	v_pk_fma_f32 v[162:163], v[40:41], s[44:45], v[162:163] op_sel_hi:[1,0,1]
	v_mov_b32_e32 v166, v164
	v_mov_b32_e32 v167, v163
	v_pk_add_f32 v[152:153], v[166:167], v[152:153]
	v_pk_mul_f32 v[166:167], v[76:77], s[56:57] op_sel_hi:[1,0]
	v_mov_b32_e32 v163, v165
	v_pk_fma_f32 v[168:169], v[48:49], s[48:49], v[166:167] op_sel_hi:[1,0,1] neg_lo:[0,0,1] neg_hi:[0,0,1]
	v_pk_fma_f32 v[166:167], v[48:49], s[48:49], v[166:167] op_sel_hi:[1,0,1]
	;; [unrolled: 7-line block ×5, first 2 shown]
	v_mov_b32_e32 v182, v180
	v_mov_b32_e32 v183, v179
	v_pk_add_f32 v[152:153], v[182:183], v[152:153]
	v_pk_fma_f32 v[182:183], v[0:1], s[34:35], v[68:69] neg_lo:[1,0,0] neg_hi:[1,0,0]
	v_mov_b32_e32 v179, v181
	v_mov_b32_e32 v183, v185
	v_pk_add_f32 v[182:183], v[182:183], v[4:5]
	v_pk_fma_f32 v[14:15], v[0:1], s[20:21], v[14:15] neg_lo:[0,0,1] neg_hi:[0,0,1]
	v_pk_add_f32 v[182:183], v[186:187], v[182:183]
	v_pk_mul_f32 v[186:187], v[44:45], s[0:1] op_sel_hi:[1,0]
	v_pk_mul_f32 v[44:45], v[44:45], s[34:35] op_sel_hi:[1,0]
	v_pk_fma_f32 v[190:191], v[42:43], s[48:49], v[186:187] op_sel:[0,0,1] op_sel_hi:[1,0,0] neg_lo:[0,0,1] neg_hi:[0,0,1]
	v_pk_fma_f32 v[186:187], v[42:43], s[48:49], v[186:187] op_sel:[0,0,1] op_sel_hi:[1,0,0]
	v_mov_b32_e32 v192, v190
	v_mov_b32_e32 v193, v187
	v_pk_add_f32 v[182:183], v[192:193], v[182:183]
	v_pk_mul_f32 v[192:193], v[78:79], s[58:59] op_sel_hi:[1,0]
	v_pk_mul_f32 v[78:79], v[78:79], s[52:53] op_sel_hi:[1,0]
	v_pk_fma_f32 v[194:195], v[40:41], s[30:31], v[192:193] op_sel_hi:[1,0,1] neg_lo:[0,0,1] neg_hi:[0,0,1]
	v_pk_fma_f32 v[192:193], v[40:41], s[30:31], v[192:193] op_sel_hi:[1,0,1]
	v_mov_b32_e32 v196, v194
	v_mov_b32_e32 v197, v193
	v_pk_add_f32 v[182:183], v[196:197], v[182:183]
	v_pk_mul_f32 v[196:197], v[76:77], s[24:25] op_sel_hi:[1,0]
	s_mov_b32 s24, s25
	v_pk_fma_f32 v[198:199], v[48:49], s[54:55], v[196:197] op_sel_hi:[1,0,1] neg_lo:[0,0,1] neg_hi:[0,0,1]
	v_pk_fma_f32 v[196:197], v[48:49], s[54:55], v[196:197] op_sel_hi:[1,0,1]
	v_mov_b32_e32 v200, v198
	v_mov_b32_e32 v201, v197
	v_pk_add_f32 v[182:183], v[200:201], v[182:183]
	v_pk_mul_f32 v[200:201], v[74:75], s[16:17] op_sel_hi:[1,0]
	s_mov_b32 s25, s46
	v_pk_fma_f32 v[202:203], v[50:51], s[42:43], v[200:201] op_sel_hi:[1,0,1] neg_lo:[0,0,1] neg_hi:[0,0,1]
	v_pk_fma_f32 v[200:201], v[50:51], s[42:43], v[200:201] op_sel_hi:[1,0,1]
	v_mov_b32_e32 v204, v202
	v_mov_b32_e32 v205, v201
	v_pk_add_f32 v[182:183], v[204:205], v[182:183]
	v_pk_mul_f32 v[204:205], v[72:73], s[52:53] op_sel_hi:[1,0]
	v_pk_mul_f32 v[46:47], v[46:47], s[24:25]
	v_pk_fma_f32 v[206:207], v[52:53], s[50:51], v[204:205] op_sel_hi:[1,0,1] neg_lo:[0,0,1] neg_hi:[0,0,1]
	v_pk_fma_f32 v[204:205], v[52:53], s[50:51], v[204:205] op_sel_hi:[1,0,1]
	v_mov_b32_e32 v208, v206
	v_mov_b32_e32 v209, v205
	v_pk_add_f32 v[182:183], v[208:209], v[182:183]
	v_pk_mul_f32 v[208:209], v[70:71], s[20:21] op_sel_hi:[1,0]
	v_pk_fma_f32 v[108:109], v[108:109], s[46:47], v[46:47] neg_lo:[1,0,0] neg_hi:[1,0,0]
	v_pk_fma_f32 v[210:211], v[54:55], s[38:39], v[208:209] op_sel_hi:[1,0,1] neg_lo:[0,0,1] neg_hi:[0,0,1]
	v_pk_fma_f32 v[208:209], v[54:55], s[38:39], v[208:209] op_sel_hi:[1,0,1]
	v_mov_b32_e32 v212, v210
	v_mov_b32_e32 v213, v209
	v_pk_add_f32 v[182:183], v[212:213], v[182:183]
	ds_write2_b64 v89, v[152:153], v[182:183] offset0:6 offset1:7
	v_pk_fma_f32 v[152:153], v[0:1], s[16:17], v[38:39] neg_lo:[1,0,0] neg_hi:[1,0,0]
	v_pk_fma_f32 v[182:183], v[0:1], s[16:17], v[38:39]
	v_pk_fma_f32 v[212:213], v[36:37], s[46:47], v[46:47]
	v_mov_b32_e32 v153, v183
	v_pk_add_f32 v[152:153], v[152:153], v[4:5]
	v_mov_b32_e32 v109, v213
	v_pk_add_f32 v[108:109], v[108:109], v[152:153]
	v_pk_fma_f32 v[152:153], v[42:43], s[44:45], v[44:45] op_sel:[0,0,1] op_sel_hi:[1,0,0] neg_lo:[0,0,1] neg_hi:[0,0,1]
	v_pk_fma_f32 v[42:43], v[42:43], s[44:45], v[44:45] op_sel:[0,0,1] op_sel_hi:[1,0,0]
	v_mov_b32_e32 v44, v152
	v_mov_b32_e32 v45, v43
	v_pk_add_f32 v[44:45], v[44:45], v[108:109]
	v_pk_fma_f32 v[108:109], v[40:41], s[50:51], v[78:79] op_sel_hi:[1,0,1] neg_lo:[0,0,1] neg_hi:[0,0,1]
	v_pk_fma_f32 v[40:41], v[40:41], s[50:51], v[78:79] op_sel_hi:[1,0,1]
	v_mov_b32_e32 v78, v108
	v_mov_b32_e32 v79, v41
	v_pk_mul_f32 v[76:77], v[76:77], s[14:15] op_sel_hi:[1,0]
	v_pk_fma_f32 v[38:39], v[0:1], s[16:17], v[38:39] neg_lo:[0,0,1] neg_hi:[0,0,1]
	v_pk_add_f32 v[44:45], v[78:79], v[44:45]
	v_pk_fma_f32 v[78:79], v[48:49], s[30:31], v[76:77] op_sel_hi:[1,0,1] neg_lo:[0,0,1] neg_hi:[0,0,1]
	v_pk_fma_f32 v[48:49], v[48:49], s[30:31], v[76:77] op_sel_hi:[1,0,1]
	v_mov_b32_e32 v183, v39
	v_pk_fma_f32 v[38:39], v[36:37], s[46:47], v[46:47] neg_lo:[0,0,1] neg_hi:[0,0,1]
	v_mov_b32_e32 v76, v78
	v_mov_b32_e32 v77, v49
	v_pk_mul_f32 v[74:75], v[74:75], s[36:37] op_sel_hi:[1,0]
	v_mov_b32_e32 v213, v39
	v_pk_add_f32 v[38:39], v[182:183], v[4:5]
	v_pk_add_f32 v[44:45], v[76:77], v[44:45]
	v_pk_fma_f32 v[76:77], v[50:51], s[28:29], v[74:75] op_sel_hi:[1,0,1] neg_lo:[0,0,1] neg_hi:[0,0,1]
	v_pk_fma_f32 v[50:51], v[50:51], s[28:29], v[74:75] op_sel_hi:[1,0,1]
	v_pk_add_f32 v[38:39], v[212:213], v[38:39]
	v_mov_b32_e32 v43, v153
	v_mov_b32_e32 v74, v76
	;; [unrolled: 1-line block ×3, first 2 shown]
	v_pk_mul_f32 v[72:73], v[72:73], s[20:21] op_sel_hi:[1,0]
	v_pk_add_f32 v[38:39], v[42:43], v[38:39]
	v_mov_b32_e32 v41, v109
	v_pk_add_f32 v[44:45], v[74:75], v[44:45]
	v_pk_fma_f32 v[74:75], v[52:53], s[38:39], v[72:73] op_sel_hi:[1,0,1] neg_lo:[0,0,1] neg_hi:[0,0,1]
	v_pk_fma_f32 v[52:53], v[52:53], s[38:39], v[72:73] op_sel_hi:[1,0,1]
	v_pk_add_f32 v[38:39], v[40:41], v[38:39]
	v_mov_b32_e32 v49, v79
	v_mov_b32_e32 v72, v74
	v_mov_b32_e32 v73, v53
	v_pk_mul_f32 v[70:71], v[70:71], s[56:57] op_sel_hi:[1,0]
	v_pk_add_f32 v[38:39], v[48:49], v[38:39]
	v_mov_b32_e32 v51, v77
	v_pk_add_f32 v[44:45], v[72:73], v[44:45]
	v_pk_fma_f32 v[72:73], v[54:55], s[48:49], v[70:71] op_sel_hi:[1,0,1] neg_lo:[0,0,1] neg_hi:[0,0,1]
	v_pk_fma_f32 v[54:55], v[54:55], s[48:49], v[70:71] op_sel_hi:[1,0,1]
	v_pk_add_f32 v[38:39], v[50:51], v[38:39]
	v_mov_b32_e32 v53, v75
	v_mov_b32_e32 v70, v72
	;; [unrolled: 1-line block ×3, first 2 shown]
	v_pk_add_f32 v[38:39], v[52:53], v[38:39]
	v_mov_b32_e32 v55, v73
	v_pk_add_f32 v[44:45], v[70:71], v[44:45]
	v_pk_add_f32 v[38:39], v[54:55], v[38:39]
	ds_write2_b64 v89, v[44:45], v[38:39] offset0:8 offset1:9
	v_pk_fma_f32 v[38:39], v[0:1], s[34:35], v[68:69] neg_lo:[0,0,1] neg_hi:[0,0,1]
	v_pk_fma_f32 v[40:41], v[0:1], s[14:15], v[150:151] neg_lo:[0,0,1] neg_hi:[0,0,1]
	v_mov_b32_e32 v185, v39
	v_pk_fma_f32 v[38:39], v[36:37], s[36:37], v[66:67] neg_lo:[0,0,1] neg_hi:[0,0,1]
	v_mov_b32_e32 v155, v41
	v_mov_b32_e32 v189, v39
	v_pk_add_f32 v[38:39], v[184:185], v[4:5]
	v_pk_add_f32 v[32:33], v[154:155], v[4:5]
	;; [unrolled: 1-line block ×3, first 2 shown]
	v_mov_b32_e32 v187, v191
	v_pk_add_f32 v[32:33], v[158:159], v[32:33]
	v_pk_add_f32 v[38:39], v[186:187], v[38:39]
	v_mov_b32_e32 v193, v195
	v_pk_add_f32 v[32:33], v[156:157], v[32:33]
	v_pk_add_f32 v[38:39], v[192:193], v[38:39]
	;; [unrolled: 3-line block ×5, first 2 shown]
	v_mov_b32_e32 v209, v211
	v_pk_add_f32 v[32:33], v[174:175], v[32:33]
	v_pk_fma_f32 v[12:13], v[0:1], s[0:1], v[12:13] neg_lo:[0,0,1] neg_hi:[0,0,1]
	v_pk_fma_f32 v[0:1], v[0:1], s[6:7], v[8:9] neg_lo:[0,0,1] neg_hi:[0,0,1]
	v_pk_add_f32 v[38:39], v[208:209], v[38:39]
	v_pk_add_f32 v[32:33], v[178:179], v[32:33]
	v_mov_b32_e32 v119, v15
	v_mov_b32_e32 v81, v13
	;; [unrolled: 1-line block ×3, first 2 shown]
	ds_write2_b64 v89, v[38:39], v[32:33] offset0:10 offset1:11
	v_pk_add_f32 v[14:15], v[118:119], v[4:5]
	v_pk_fma_f32 v[32:33], v[36:37], s[22:23], v[122:123] neg_lo:[0,0,1] neg_hi:[0,0,1]
	v_pk_add_f32 v[12:13], v[80:81], v[4:5]
	v_pk_fma_f32 v[10:11], v[36:37], s[16:17], v[10:11] neg_lo:[0,0,1] neg_hi:[0,0,1]
	;; [unrolled: 2-line block ×3, first 2 shown]
	v_mov_b32_e32 v121, v33
	v_mov_b32_e32 v83, v11
	v_mov_b32_e32 v19, v5
	v_pk_add_f32 v[14:15], v[120:121], v[14:15]
	v_mov_b32_e32 v127, v125
	v_pk_add_f32 v[10:11], v[82:83], v[12:13]
	v_mov_b32_e32 v87, v85
	;; [unrolled: 2-line block ×18, first 2 shown]
	v_pk_add_f32 v[14:15], v[146:147], v[14:15]
	v_pk_add_f32 v[10:11], v[116:117], v[10:11]
	;; [unrolled: 1-line block ×3, first 2 shown]
	ds_write2_b64 v89, v[14:15], v[10:11] offset0:12 offset1:13
	ds_write2_b64 v89, v[0:1], v[2:3] offset0:14 offset1:15
	ds_write_b64 v89, v[214:215] offset:128
.LBB0_7:
	s_or_b64 exec, exec, s[18:19]
	s_mov_b64 s[0:1], 0x99
	v_lshl_add_u64 v[40:41], v[216:217], 0, s[0:1]
	s_movk_i32 s14, 0xf1
	v_mul_lo_u16_sdwa v4, v40, s14 dst_sel:DWORD dst_unused:UNUSED_PAD src0_sel:BYTE_0 src1_sel:DWORD
	s_mov_b64 s[0:1], 0xcc
	v_lshrrev_b16_e32 v41, 12, v4
	v_lshl_add_u64 v[0:1], v[216:217], 0, s[0:1]
	v_mul_lo_u16_e32 v4, 17, v41
	v_sub_u16_e32 v53, v40, v4
	v_mul_lo_u16_sdwa v4, v0, s14 dst_sel:DWORD dst_unused:UNUSED_PAD src0_sel:BYTE_0 src1_sel:DWORD
	v_lshrrev_b16_e32 v54, 12, v4
	v_mul_lo_u16_e32 v4, 17, v54
	v_mov_b32_e32 v1, 4
	v_sub_u16_e32 v55, v0, v4
	v_lshlrev_b32_sdwa v4, v1, v55 dst_sel:DWORD dst_unused:UNUSED_PAD src0_sel:DWORD src1_sel:BYTE_0
	s_mov_b64 s[0:1], 0x66
	s_load_dwordx4 s[4:7], s[4:5], 0x0
	s_waitcnt lgkmcnt(0)
	s_barrier
	global_load_dwordx4 v[20:23], v4, s[10:11]
	v_lshlrev_b32_sdwa v4, v1, v53 dst_sel:DWORD dst_unused:UNUSED_PAD src0_sel:DWORD src1_sel:BYTE_0
	v_lshl_add_u64 v[48:49], v[216:217], 0, s[0:1]
	global_load_dwordx4 v[16:19], v4, s[10:11]
	v_mul_lo_u16_sdwa v4, v48, s14 dst_sel:DWORD dst_unused:UNUSED_PAD src0_sel:BYTE_0 src1_sel:DWORD
	v_lshrrev_b16_e32 v49, 12, v4
	v_mul_lo_u16_e32 v4, 17, v49
	v_sub_u16_e32 v56, v48, v4
	v_lshlrev_b32_sdwa v4, v1, v56 dst_sel:DWORD dst_unused:UNUSED_PAD src0_sel:DWORD src1_sel:BYTE_0
	v_lshl_add_u64 v[42:43], v[216:217], 0, 51
	global_load_dwordx4 v[12:15], v4, s[10:11]
	v_mul_lo_u16_sdwa v4, v42, s14 dst_sel:DWORD dst_unused:UNUSED_PAD src0_sel:BYTE_0 src1_sel:DWORD
	v_lshrrev_b16_e32 v43, 12, v4
	v_mul_lo_u16_e32 v4, 17, v43
	v_sub_u16_e32 v57, v42, v4
	v_lshlrev_b32_sdwa v1, v1, v57 dst_sel:DWORD dst_unused:UNUSED_PAD src0_sel:DWORD src1_sel:BYTE_0
	global_load_dwordx4 v[8:11], v1, s[10:11]
	v_mul_lo_u16_sdwa v1, v216, s14 dst_sel:DWORD dst_unused:UNUSED_PAD src0_sel:BYTE_0 src1_sel:DWORD
	v_lshrrev_b16_e32 v58, 12, v1
	v_mul_lo_u16_e32 v1, 17, v58
	v_sub_u16_e32 v59, v216, v1
	v_lshlrev_b16_e32 v1, 1, v59
	v_and_b32_e32 v1, 0xfe, v1
	v_lshlrev_b32_e32 v1, 3, v1
	global_load_dwordx4 v[4:7], v1, s[10:11]
	v_add_lshl_u32 v91, v90, v216, 3
	v_add_u32_e32 v52, 0x800, v91
	ds_read2_b64 v[24:27], v91 offset0:204 offset1:255
	ds_read_b64 v[50:51], v91 offset:5712
	ds_read2_b64 v[28:31], v91 offset0:102 offset1:153
	v_add_u32_e32 v1, 0x1000, v91
	ds_read2_b64 v[32:35], v52 offset0:152 offset1:203
	ds_read2_b64 v[36:39], v1 offset0:100 offset1:151
	;; [unrolled: 1-line block ×3, first 2 shown]
	v_mul_u32_u24_e32 v43, 51, v43
	v_mul_u32_u24_e32 v49, 51, v49
	;; [unrolled: 1-line block ×3, first 2 shown]
	v_mad_legacy_u16 v58, v58, 51, v59
	v_add_u32_sdwa v43, v43, v57 dst_sel:DWORD dst_unused:UNUSED_PAD src0_sel:DWORD src1_sel:BYTE_0
	v_and_b32_e32 v57, 0xff, v58
	v_add_lshl_u32 v150, v90, v43, 3
	v_add_u32_sdwa v43, v49, v56 dst_sel:DWORD dst_unused:UNUSED_PAD src0_sel:DWORD src1_sel:BYTE_0
	v_add_u32_sdwa v49, v54, v55 dst_sel:DWORD dst_unused:UNUSED_PAD src0_sel:DWORD src1_sel:BYTE_0
	v_add_lshl_u32 v151, v90, v57, 3
	v_mul_u32_u24_e32 v41, 51, v41
	v_add_u32_sdwa v41, v41, v53 dst_sel:DWORD dst_unused:UNUSED_PAD src0_sel:DWORD src1_sel:BYTE_0
	v_add_u32_e32 v53, 0xc00, v91
	s_mov_b32 s0, 0x3f5db3d7
	v_add_lshl_u32 v147, v90, v43, 3
	v_add_lshl_u32 v146, v90, v41, 3
	;; [unrolled: 1-line block ×3, first 2 shown]
	v_lshlrev_b32_e32 v96, 5, v216
	s_mov_b32 s16, 0x3f737871
	s_mov_b32 s18, 0x3f167918
	;; [unrolled: 1-line block ×3, first 2 shown]
	v_mov_b32_e32 v97, 0
	v_lshlrev_b32_e32 v49, 4, v216
	v_lshlrev_b32_e32 v40, 4, v40
	;; [unrolled: 1-line block ×3, first 2 shown]
	v_lshl_add_u32 v93, v216, 3, v148
	v_lshlrev_b32_e32 v153, 3, v216
	v_add_u32_e32 v144, v153, v148
	s_waitcnt vmcnt(4) lgkmcnt(2)
	v_pk_mul_f32 v[54:55], v[34:35], v[20:21] op_sel:[0,1]
	v_mov_b32_e32 v56, v23
	v_pk_fma_f32 v[62:63], v[34:35], v[20:21], v[54:55] op_sel:[0,0,1] op_sel_hi:[1,1,0] neg_lo:[0,0,1] neg_hi:[0,0,1]
	s_waitcnt vmcnt(3)
	v_pk_mul_f32 v[58:59], v[32:33], v[16:17] op_sel:[0,1]
	v_mov_b32_e32 v60, v19
	v_pk_fma_f32 v[34:35], v[34:35], v[20:21], v[54:55] op_sel:[0,0,1] op_sel_hi:[1,0,0]
	v_pk_mul_f32 v[54:55], v[50:51], v[56:57] op_sel_hi:[1,0]
	v_pk_fma_f32 v[56:57], v[32:33], v[16:17], v[58:59] op_sel:[0,0,1] op_sel_hi:[1,1,0] neg_lo:[0,0,1] neg_hi:[0,0,1]
	v_pk_fma_f32 v[32:33], v[32:33], v[16:17], v[58:59] op_sel:[0,0,1] op_sel_hi:[1,0,0]
	s_waitcnt lgkmcnt(1)
	v_pk_mul_f32 v[58:59], v[38:39], v[60:61] op_sel_hi:[1,0]
	v_mov_b32_e32 v63, v35
	v_pk_fma_f32 v[60:61], v[50:51], v[22:23], v[54:55] op_sel:[0,0,1] op_sel_hi:[1,1,0] neg_lo:[0,0,1] neg_hi:[0,0,1]
	v_pk_fma_f32 v[34:35], v[50:51], v[22:23], v[54:55] op_sel:[0,0,1] op_sel_hi:[1,0,0]
	v_mov_b32_e32 v57, v33
	v_pk_fma_f32 v[50:51], v[38:39], v[18:19], v[58:59] op_sel:[0,0,1] op_sel_hi:[1,1,0] neg_lo:[0,0,1] neg_hi:[0,0,1]
	v_pk_fma_f32 v[32:33], v[38:39], v[18:19], v[58:59] op_sel:[0,0,1] op_sel_hi:[1,0,0]
	s_waitcnt vmcnt(1) lgkmcnt(0)
	v_pk_mul_f32 v[68:69], v[44:45], v[8:9] op_sel:[0,1]
	v_mov_b32_e32 v51, v33
	v_pk_add_f32 v[32:33], v[30:31], v[56:57]
	v_pk_fma_f32 v[70:71], v[44:45], v[8:9], v[68:69] op_sel:[0,0,1] op_sel_hi:[1,1,0] neg_lo:[0,0,1] neg_hi:[0,0,1]
	v_pk_add_f32 v[58:59], v[32:33], v[50:51]
	v_pk_mul_f32 v[32:33], v[46:47], v[12:13] op_sel:[0,1]
	v_pk_fma_f32 v[44:45], v[44:45], v[8:9], v[68:69] op_sel:[0,0,1] op_sel_hi:[1,0,0]
	v_pk_fma_f32 v[64:65], v[46:47], v[12:13], v[32:33] op_sel:[0,0,1] op_sel_hi:[1,1,0] neg_lo:[0,0,1] neg_hi:[0,0,1]
	v_pk_fma_f32 v[32:33], v[46:47], v[12:13], v[32:33] op_sel:[0,0,1] op_sel_hi:[1,0,0]
	v_mov_b32_e32 v44, v11
	v_mov_b32_e32 v32, v15
	;; [unrolled: 1-line block ×3, first 2 shown]
	v_pk_mul_f32 v[32:33], v[36:37], v[32:33] op_sel_hi:[1,0]
	v_mov_b32_e32 v71, v45
	v_pk_fma_f32 v[46:47], v[36:37], v[14:15], v[32:33] op_sel:[0,0,1] op_sel_hi:[1,1,0] neg_lo:[0,0,1] neg_hi:[0,0,1]
	v_pk_fma_f32 v[32:33], v[36:37], v[14:15], v[32:33] op_sel:[0,0,1] op_sel_hi:[1,0,0]
	ds_read2_b64 v[36:39], v53 offset0:126 offset1:177
	v_mov_b32_e32 v61, v35
	v_pk_add_f32 v[34:35], v[24:25], v[62:63]
	v_mov_b32_e32 v47, v33
	v_pk_add_f32 v[32:33], v[28:29], v[64:65]
	s_waitcnt lgkmcnt(0)
	v_pk_mul_f32 v[44:45], v[38:39], v[44:45] op_sel_hi:[1,0]
	v_pk_add_f32 v[54:55], v[34:35], v[60:61]
	v_pk_fma_f32 v[68:69], v[38:39], v[10:11], v[44:45] op_sel:[0,0,1] op_sel_hi:[1,1,0] neg_lo:[0,0,1] neg_hi:[0,0,1]
	v_pk_fma_f32 v[38:39], v[38:39], v[10:11], v[44:45] op_sel:[0,0,1] op_sel_hi:[1,0,0]
	s_waitcnt vmcnt(0)
	v_pk_mul_f32 v[44:45], v[26:27], v[4:5] op_sel:[0,1]
	v_pk_add_f32 v[66:67], v[32:33], v[46:47]
	v_pk_fma_f32 v[72:73], v[26:27], v[4:5], v[44:45] op_sel:[0,0,1] op_sel_hi:[1,1,0] neg_lo:[0,0,1] neg_hi:[0,0,1]
	v_pk_fma_f32 v[26:27], v[26:27], v[4:5], v[44:45] op_sel:[0,0,1] op_sel_hi:[1,0,0]
	ds_read2_b64 v[32:35], v91 offset1:51
	v_mov_b32_e32 v26, v7
	v_mov_b32_e32 v73, v27
	v_pk_mul_f32 v[26:27], v[36:37], v[26:27] op_sel_hi:[1,0]
	v_mov_b32_e32 v69, v39
	v_pk_fma_f32 v[44:45], v[36:37], v[6:7], v[26:27] op_sel:[0,0,1] op_sel_hi:[1,1,0] neg_lo:[0,0,1] neg_hi:[0,0,1]
	v_pk_fma_f32 v[26:27], v[36:37], v[6:7], v[26:27] op_sel:[0,0,1] op_sel_hi:[1,0,0]
	s_waitcnt lgkmcnt(0)
	v_mov_b32_e32 v45, v27
	v_pk_add_f32 v[36:37], v[72:73], v[44:45]
	v_pk_add_f32 v[26:27], v[32:33], v[72:73]
	v_pk_fma_f32 v[32:33], v[36:37], 0.5, v[32:33] op_sel_hi:[1,0,1] neg_lo:[1,0,0] neg_hi:[1,0,0]
	v_pk_add_f32 v[36:37], v[72:73], v[44:45] neg_lo:[0,1] neg_hi:[0,1]
	v_pk_add_f32 v[26:27], v[26:27], v[44:45]
	v_pk_mul_f32 v[36:37], v[36:37], s[0:1] op_sel_hi:[1,0]
	s_barrier
	v_pk_add_f32 v[44:45], v[32:33], v[36:37] op_sel:[0,1] op_sel_hi:[1,0]
	v_pk_add_f32 v[32:33], v[32:33], v[36:37] op_sel:[0,1] op_sel_hi:[1,0] neg_lo:[0,1] neg_hi:[0,1]
	v_mov_b32_e32 v36, v44
	v_mov_b32_e32 v37, v33
	;; [unrolled: 1-line block ×3, first 2 shown]
	ds_write2_b64 v151, v[26:27], v[36:37] offset1:17
	ds_write_b64 v151, v[32:33] offset:272
	v_pk_add_f32 v[26:27], v[70:71], v[68:69]
	v_pk_add_f32 v[32:33], v[70:71], v[68:69] neg_lo:[0,1] neg_hi:[0,1]
	v_pk_fma_f32 v[26:27], v[26:27], 0.5, v[34:35] op_sel_hi:[1,0,1] neg_lo:[1,0,0] neg_hi:[1,0,0]
	v_pk_mul_f32 v[32:33], v[32:33], s[0:1] op_sel_hi:[1,0]
	v_pk_add_f32 v[38:39], v[34:35], v[70:71]
	v_pk_add_f32 v[34:35], v[26:27], v[32:33] op_sel:[0,1] op_sel_hi:[1,0]
	v_pk_add_f32 v[26:27], v[26:27], v[32:33] op_sel:[0,1] op_sel_hi:[1,0] neg_lo:[0,1] neg_hi:[0,1]
	v_pk_add_f32 v[38:39], v[38:39], v[68:69]
	v_mov_b32_e32 v33, v27
	v_mov_b32_e32 v27, v35
	ds_write_b64 v150, v[26:27] offset:272
	v_pk_add_f32 v[26:27], v[64:65], v[46:47]
	v_mov_b32_e32 v32, v34
	v_pk_fma_f32 v[26:27], v[26:27], 0.5, v[28:29] op_sel_hi:[1,0,1] neg_lo:[1,0,0] neg_hi:[1,0,0]
	v_pk_add_f32 v[28:29], v[64:65], v[46:47] neg_lo:[0,1] neg_hi:[0,1]
	ds_write2_b64 v150, v[38:39], v[32:33] offset1:17
	v_pk_mul_f32 v[28:29], v[28:29], s[0:1] op_sel_hi:[1,0]
	s_nop 0
	v_pk_add_f32 v[32:33], v[26:27], v[28:29] op_sel:[0,1] op_sel_hi:[1,0]
	v_pk_add_f32 v[26:27], v[26:27], v[28:29] op_sel:[0,1] op_sel_hi:[1,0] neg_lo:[0,1] neg_hi:[0,1]
	v_mov_b32_e32 v28, v32
	v_mov_b32_e32 v29, v27
	;; [unrolled: 1-line block ×3, first 2 shown]
	ds_write2_b64 v147, v[66:67], v[28:29] offset1:17
	ds_write_b64 v147, v[26:27] offset:272
	v_pk_add_f32 v[26:27], v[56:57], v[50:51]
	v_pk_add_f32 v[28:29], v[56:57], v[50:51] neg_lo:[0,1] neg_hi:[0,1]
	v_pk_fma_f32 v[26:27], v[26:27], 0.5, v[30:31] op_sel_hi:[1,0,1] neg_lo:[1,0,0] neg_hi:[1,0,0]
	v_pk_mul_f32 v[28:29], v[28:29], s[0:1] op_sel_hi:[1,0]
	s_nop 0
	v_pk_add_f32 v[30:31], v[26:27], v[28:29] op_sel:[0,1] op_sel_hi:[1,0]
	v_pk_add_f32 v[26:27], v[26:27], v[28:29] op_sel:[0,1] op_sel_hi:[1,0] neg_lo:[0,1] neg_hi:[0,1]
	v_mov_b32_e32 v28, v30
	v_mov_b32_e32 v29, v27
	;; [unrolled: 1-line block ×3, first 2 shown]
	ds_write_b64 v146, v[26:27] offset:272
	v_pk_add_f32 v[26:27], v[62:63], v[60:61]
	ds_write2_b64 v146, v[58:59], v[28:29] offset1:17
	v_pk_fma_f32 v[24:25], v[26:27], 0.5, v[24:25] op_sel_hi:[1,0,1] neg_lo:[1,0,0] neg_hi:[1,0,0]
	v_pk_add_f32 v[26:27], v[62:63], v[60:61] neg_lo:[0,1] neg_hi:[0,1]
	s_nop 0
	v_pk_mul_f32 v[26:27], v[26:27], s[0:1] op_sel_hi:[1,0]
	s_movk_i32 s1, 0xa1
	v_pk_add_f32 v[28:29], v[24:25], v[26:27] op_sel:[0,1] op_sel_hi:[1,0]
	v_pk_add_f32 v[24:25], v[24:25], v[26:27] op_sel:[0,1] op_sel_hi:[1,0] neg_lo:[0,1] neg_hi:[0,1]
	v_mov_b32_e32 v26, v28
	v_mov_b32_e32 v27, v25
	;; [unrolled: 1-line block ×3, first 2 shown]
	ds_write2_b64 v145, v[54:55], v[26:27] offset1:17
	ds_write_b64 v145, v[24:25] offset:272
	s_waitcnt lgkmcnt(0)
	s_barrier
	global_load_dwordx4 v[28:31], v96, s[10:11] offset:272
	global_load_dwordx4 v[24:27], v96, s[10:11] offset:288
	v_mul_lo_u16_sdwa v32, v48, s1 dst_sel:DWORD dst_unused:UNUSED_PAD src0_sel:BYTE_0 src1_sel:DWORD
	v_lshrrev_b16_e32 v32, 13, v32
	v_mul_lo_u16_e32 v32, 51, v32
	v_sub_u16_e32 v32, v48, v32
	v_and_b32_e32 v41, 0xff, v32
	v_lshlrev_b32_e32 v43, 5, v41
	global_load_dwordx4 v[36:39], v43, s[10:11] offset:272
	global_load_dwordx4 v[32:35], v43, s[10:11] offset:288
	ds_read2_b64 v[44:47], v91 offset0:102 offset1:153
	ds_read2_b64 v[54:57], v91 offset1:51
	ds_read2_b64 v[58:61], v52 offset0:50 offset1:101
	ds_read2_b64 v[62:65], v52 offset0:152 offset1:203
	;; [unrolled: 1-line block ×3, first 2 shown]
	v_add_lshl_u32 v152, v90, v41, 3
	v_add_u32_e32 v41, 0xc00, v152
	v_lshlrev_b32_e32 v48, 4, v48
	s_waitcnt vmcnt(3) lgkmcnt(4)
	v_pk_mul_f32 v[50:51], v[46:47], v[28:29] op_sel:[0,1]
	s_nop 0
	v_pk_fma_f32 v[70:71], v[46:47], v[28:29], v[50:51] op_sel:[0,0,1] op_sel_hi:[1,1,0] neg_lo:[0,0,1] neg_hi:[0,0,1]
	v_pk_fma_f32 v[46:47], v[46:47], v[28:29], v[50:51] op_sel:[0,0,1] op_sel_hi:[1,0,0]
	s_nop 0
	v_mov_b32_e32 v46, v31
	s_waitcnt lgkmcnt(2)
	v_pk_mul_f32 v[50:51], v[58:59], v[46:47] op_sel_hi:[1,0]
	v_mov_b32_e32 v71, v47
	v_pk_fma_f32 v[72:73], v[58:59], v[30:31], v[50:51] op_sel:[0,0,1] op_sel_hi:[1,1,0] neg_lo:[0,0,1] neg_hi:[0,0,1]
	v_pk_fma_f32 v[50:51], v[58:59], v[30:31], v[50:51] op_sel:[0,0,1] op_sel_hi:[1,0,0]
	v_pk_mul_f32 v[46:47], v[60:61], v[46:47] op_sel_hi:[1,0]
	v_mov_b32_e32 v73, v51
	s_waitcnt vmcnt(2) lgkmcnt(1)
	v_pk_mul_f32 v[50:51], v[64:65], v[24:25] op_sel:[0,1]
	v_pk_add_f32 v[84:85], v[70:71], v[72:73] neg_lo:[0,1] neg_hi:[0,1]
	v_pk_fma_f32 v[58:59], v[64:65], v[24:25], v[50:51] op_sel:[0,0,1] op_sel_hi:[1,1,0] neg_lo:[0,0,1] neg_hi:[0,0,1]
	v_pk_fma_f32 v[50:51], v[64:65], v[24:25], v[50:51] op_sel:[0,0,1] op_sel_hi:[1,0,0]
	s_nop 0
	v_mov_b32_e32 v50, v27
	s_waitcnt lgkmcnt(0)
	v_pk_mul_f32 v[64:65], v[66:67], v[50:51] op_sel_hi:[1,0]
	v_mov_b32_e32 v59, v51
	v_pk_fma_f32 v[74:75], v[66:67], v[26:27], v[64:65] op_sel:[0,0,1] op_sel_hi:[1,1,0] neg_lo:[0,0,1] neg_hi:[0,0,1]
	v_pk_fma_f32 v[64:65], v[66:67], v[26:27], v[64:65] op_sel:[0,0,1] op_sel_hi:[1,0,0]
	v_pk_add_f32 v[80:81], v[72:73], v[58:59] neg_lo:[0,1] neg_hi:[0,1]
	v_mov_b32_e32 v75, v65
	v_pk_add_f32 v[64:65], v[54:55], v[70:71]
	v_pk_add_f32 v[66:67], v[70:71], v[74:75] neg_lo:[0,1] neg_hi:[0,1]
	v_pk_add_f32 v[64:65], v[64:65], v[72:73]
	v_pk_mul_f32 v[78:79], v[66:67], s[16:17] op_sel_hi:[1,0]
	v_pk_add_f32 v[64:65], v[64:65], v[58:59]
	v_pk_add_f32 v[86:87], v[74:75], v[58:59] neg_lo:[0,1] neg_hi:[0,1]
	v_pk_add_f32 v[76:77], v[64:65], v[74:75]
	v_pk_add_f32 v[64:65], v[72:73], v[58:59]
	v_pk_mul_f32 v[82:83], v[80:81], s[18:19] op_sel_hi:[1,0]
	v_pk_fma_f32 v[64:65], v[64:65], 0.5, v[54:55] op_sel_hi:[1,0,1] neg_lo:[1,0,0] neg_hi:[1,0,0]
	v_pk_add_f32 v[84:85], v[84:85], v[86:87]
	v_pk_add_f32 v[86:87], v[64:65], v[78:79] op_sel:[0,1] op_sel_hi:[1,0]
	v_pk_add_f32 v[64:65], v[64:65], v[78:79] op_sel:[0,1] op_sel_hi:[1,0] neg_lo:[0,1] neg_hi:[0,1]
	v_pk_add_f32 v[58:59], v[58:59], v[74:75] neg_lo:[0,1] neg_hi:[0,1]
	v_pk_add_f32 v[78:79], v[64:65], v[82:83] op_sel:[0,1] op_sel_hi:[1,0] neg_lo:[0,1] neg_hi:[0,1]
	v_pk_add_f32 v[64:65], v[86:87], v[82:83] op_sel:[0,1] op_sel_hi:[1,0]
	v_pk_add_f32 v[86:87], v[70:71], v[74:75]
	v_pk_add_f32 v[70:71], v[72:73], v[70:71] neg_lo:[0,1] neg_hi:[0,1]
	v_pk_fma_f32 v[54:55], v[86:87], 0.5, v[54:55] op_sel_hi:[1,0,1] neg_lo:[1,0,0] neg_hi:[1,0,0]
	v_pk_add_f32 v[58:59], v[70:71], v[58:59]
	v_pk_mul_f32 v[70:71], v[80:81], s[16:17] op_sel_hi:[1,0]
	v_pk_mul_f32 v[66:67], v[66:67], s[18:19] op_sel_hi:[1,0]
	v_pk_add_f32 v[72:73], v[54:55], v[70:71] op_sel:[0,1] op_sel_hi:[1,0] neg_lo:[0,1] neg_hi:[0,1]
	v_pk_add_f32 v[54:55], v[54:55], v[70:71] op_sel:[0,1] op_sel_hi:[1,0]
	v_mov_b32_e32 v82, v64
	v_pk_add_f32 v[54:55], v[54:55], v[66:67] op_sel:[0,1] op_sel_hi:[1,0] neg_lo:[0,1] neg_hi:[0,1]
	v_pk_add_f32 v[66:67], v[72:73], v[66:67] op_sel:[0,1] op_sel_hi:[1,0]
	v_mov_b32_e32 v83, v79
	v_mov_b32_e32 v70, v66
	;; [unrolled: 1-line block ×5, first 2 shown]
	ds_read2_b64 v[64:67], v91 offset0:204 offset1:255
	v_pk_fma_f32 v[82:83], v[84:85], s[14:15], v[82:83] op_sel_hi:[1,0,1]
	v_pk_fma_f32 v[74:75], v[58:59], s[14:15], v[70:71] op_sel_hi:[1,0,1]
	;; [unrolled: 1-line block ×4, first 2 shown]
	s_waitcnt vmcnt(1) lgkmcnt(0)
	v_pk_mul_f32 v[80:81], v[66:67], v[36:37] op_sel:[0,1]
	ds_read2_b64 v[70:73], v53 offset0:126 offset1:177
	ds_read_b64 v[78:79], v91 offset:5712
	v_pk_fma_f32 v[84:85], v[66:67], v[36:37], v[80:81] op_sel:[0,0,1] op_sel_hi:[1,1,0] neg_lo:[0,0,1] neg_hi:[0,0,1]
	v_pk_fma_f32 v[66:67], v[66:67], v[36:37], v[80:81] op_sel:[0,0,1] op_sel_hi:[1,0,0]
	s_waitcnt lgkmcnt(0)
	v_mov_b32_e32 v66, v39
	v_mov_b32_e32 v85, v67
	v_pk_mul_f32 v[66:67], v[62:63], v[66:67] op_sel_hi:[1,0]
	s_barrier
	v_pk_fma_f32 v[80:81], v[62:63], v[38:39], v[66:67] op_sel:[0,0,1] op_sel_hi:[1,1,0] neg_lo:[0,0,1] neg_hi:[0,0,1]
	v_pk_fma_f32 v[62:63], v[62:63], v[38:39], v[66:67] op_sel:[0,0,1] op_sel_hi:[1,0,0]
	s_nop 0
	v_mov_b32_e32 v81, v63
	s_waitcnt vmcnt(0)
	v_pk_mul_f32 v[62:63], v[72:73], v[32:33] op_sel:[0,1]
	ds_write2_b64 v91, v[76:77], v[82:83] offset1:51
	ds_write2_b64 v91, v[74:75], v[54:55] offset0:102 offset1:153
	v_pk_fma_f32 v[66:67], v[72:73], v[32:33], v[62:63] op_sel:[0,0,1] op_sel_hi:[1,1,0] neg_lo:[0,0,1] neg_hi:[0,0,1]
	v_pk_fma_f32 v[62:63], v[72:73], v[32:33], v[62:63] op_sel:[0,0,1] op_sel_hi:[1,0,0]
	s_nop 0
	v_mov_b32_e32 v62, v35
	v_mov_b32_e32 v67, v63
	v_pk_mul_f32 v[62:63], v[78:79], v[62:63] op_sel_hi:[1,0]
	s_nop 0
	v_pk_fma_f32 v[72:73], v[78:79], v[34:35], v[62:63] op_sel:[0,0,1] op_sel_hi:[1,1,0] neg_lo:[0,0,1] neg_hi:[0,0,1]
	v_pk_fma_f32 v[62:63], v[78:79], v[34:35], v[62:63] op_sel:[0,0,1] op_sel_hi:[1,0,0]
	v_pk_mul_f32 v[78:79], v[64:65], v[28:29] op_sel:[0,1]
	v_mov_b32_e32 v73, v63
	v_pk_fma_f32 v[86:87], v[64:65], v[28:29], v[78:79] op_sel:[0,0,1] op_sel_hi:[1,1,0] neg_lo:[0,0,1] neg_hi:[0,0,1]
	v_pk_fma_f32 v[64:65], v[64:65], v[28:29], v[78:79] op_sel:[0,0,1] op_sel_hi:[1,0,0]
	v_pk_add_f32 v[62:63], v[44:45], v[84:85]
	v_mov_b32_e32 v87, v65
	v_pk_fma_f32 v[64:65], v[60:61], v[30:31], v[46:47] op_sel:[0,0,1] op_sel_hi:[1,1,0] neg_lo:[0,0,1] neg_hi:[0,0,1]
	v_pk_fma_f32 v[46:47], v[60:61], v[30:31], v[46:47] op_sel:[0,0,1] op_sel_hi:[1,0,0]
	v_pk_add_f32 v[54:55], v[56:57], v[86:87]
	v_mov_b32_e32 v65, v47
	v_pk_mul_f32 v[46:47], v[70:71], v[24:25] op_sel:[0,1]
	v_pk_add_f32 v[54:55], v[54:55], v[64:65]
	v_pk_fma_f32 v[60:61], v[70:71], v[24:25], v[46:47] op_sel:[0,0,1] op_sel_hi:[1,1,0] neg_lo:[0,0,1] neg_hi:[0,0,1]
	v_pk_fma_f32 v[46:47], v[70:71], v[24:25], v[46:47] op_sel:[0,0,1] op_sel_hi:[1,0,0]
	v_pk_add_f32 v[78:79], v[86:87], v[64:65] neg_lo:[0,1] neg_hi:[0,1]
	v_mov_b32_e32 v61, v47
	v_pk_mul_f32 v[46:47], v[68:69], v[50:51] op_sel_hi:[1,0]
	v_pk_add_f32 v[54:55], v[54:55], v[60:61]
	v_pk_fma_f32 v[50:51], v[68:69], v[26:27], v[46:47] op_sel:[0,0,1] op_sel_hi:[1,1,0] neg_lo:[0,0,1] neg_hi:[0,0,1]
	v_pk_fma_f32 v[46:47], v[68:69], v[26:27], v[46:47] op_sel:[0,0,1] op_sel_hi:[1,0,0]
	v_pk_add_f32 v[70:71], v[64:65], v[60:61] neg_lo:[0,1] neg_hi:[0,1]
	v_mov_b32_e32 v51, v47
	v_pk_add_f32 v[54:55], v[54:55], v[50:51]
	v_pk_add_f32 v[46:47], v[64:65], v[60:61]
	ds_write2_b64 v91, v[58:59], v[54:55] offset0:204 offset1:255
	v_pk_add_f32 v[54:55], v[86:87], v[50:51]
	v_pk_fma_f32 v[46:47], v[46:47], 0.5, v[56:57] op_sel_hi:[1,0,1] neg_lo:[1,0,0] neg_hi:[1,0,0]
	v_pk_add_f32 v[68:69], v[86:87], v[50:51] neg_lo:[0,1] neg_hi:[0,1]
	v_pk_add_f32 v[98:99], v[50:51], v[60:61] neg_lo:[0,1] neg_hi:[0,1]
	v_pk_fma_f32 v[54:55], v[54:55], 0.5, v[56:57] op_sel_hi:[1,0,1] neg_lo:[1,0,0] neg_hi:[1,0,0]
	v_pk_add_f32 v[56:57], v[64:65], v[86:87] neg_lo:[0,1] neg_hi:[0,1]
	v_pk_add_f32 v[50:51], v[60:61], v[50:51] neg_lo:[0,1] neg_hi:[0,1]
	v_pk_add_f32 v[78:79], v[78:79], v[98:99]
	v_pk_fma_f32 v[98:99], v[68:69], s[16:17], v[46:47] op_sel:[1,0,0] op_sel_hi:[0,0,1] neg_lo:[1,0,0] neg_hi:[1,0,0]
	v_pk_fma_f32 v[46:47], v[68:69], s[16:17], v[46:47] op_sel:[1,0,0] op_sel_hi:[0,0,1]
	v_pk_add_f32 v[50:51], v[56:57], v[50:51]
	v_pk_fma_f32 v[56:57], v[70:71], s[16:17], v[54:55] op_sel:[1,0,0] op_sel_hi:[0,0,1]
	v_pk_fma_f32 v[54:55], v[70:71], s[16:17], v[54:55] op_sel:[1,0,0] op_sel_hi:[0,0,1] neg_lo:[1,0,0] neg_hi:[1,0,0]
	v_pk_fma_f32 v[46:47], v[70:71], s[18:19], v[46:47] op_sel:[1,0,0] op_sel_hi:[0,0,1]
	v_pk_fma_f32 v[98:99], v[70:71], s[18:19], v[98:99] op_sel:[1,0,0] op_sel_hi:[0,0,1] neg_lo:[1,0,0] neg_hi:[1,0,0]
	;; [unrolled: 2-line block ×3, first 2 shown]
	v_mov_b32_e32 v101, v47
	v_mov_b32_e32 v47, v99
	;; [unrolled: 1-line block ×6, first 2 shown]
	v_pk_fma_f32 v[46:47], v[78:79], s[14:15], v[46:47] op_sel_hi:[1,0,1]
	v_pk_fma_f32 v[58:59], v[50:51], s[14:15], v[58:59] op_sel_hi:[1,0,1]
	;; [unrolled: 1-line block ×4, first 2 shown]
	ds_write2_b64 v52, v[46:47], v[50:51] offset0:50 offset1:101
	ds_write2_b64 v52, v[58:59], v[100:101] offset0:152 offset1:203
	v_pk_add_f32 v[46:47], v[80:81], v[66:67]
	v_pk_add_f32 v[50:51], v[84:85], v[72:73] neg_lo:[0,1] neg_hi:[0,1]
	v_pk_fma_f32 v[46:47], v[46:47], 0.5, v[44:45] op_sel_hi:[1,0,1] neg_lo:[1,0,0] neg_hi:[1,0,0]
	v_pk_mul_f32 v[54:55], v[50:51], s[16:17] op_sel_hi:[1,0]
	v_pk_add_f32 v[56:57], v[80:81], v[66:67] neg_lo:[0,1] neg_hi:[0,1]
	v_pk_add_f32 v[60:61], v[84:85], v[80:81] neg_lo:[0,1] neg_hi:[0,1]
	;; [unrolled: 1-line block ×3, first 2 shown]
	v_pk_mul_f32 v[58:59], v[56:57], s[18:19] op_sel_hi:[1,0]
	v_pk_add_f32 v[60:61], v[60:61], v[64:65]
	v_pk_add_f32 v[64:65], v[46:47], v[54:55] op_sel:[0,1] op_sel_hi:[1,0]
	v_pk_add_f32 v[46:47], v[46:47], v[54:55] op_sel:[0,1] op_sel_hi:[1,0] neg_lo:[0,1] neg_hi:[0,1]
	v_pk_add_f32 v[62:63], v[62:63], v[80:81]
	v_pk_add_f32 v[46:47], v[46:47], v[58:59] op_sel:[0,1] op_sel_hi:[1,0] neg_lo:[0,1] neg_hi:[0,1]
	v_pk_add_f32 v[54:55], v[64:65], v[58:59] op_sel:[0,1] op_sel_hi:[1,0]
	v_pk_add_f32 v[62:63], v[62:63], v[66:67]
	v_mov_b32_e32 v58, v54
	v_mov_b32_e32 v59, v47
	v_pk_add_f32 v[62:63], v[62:63], v[72:73]
	v_pk_fma_f32 v[58:59], v[60:61], s[14:15], v[58:59] op_sel_hi:[1,0,1]
	ds_write2_b64 v41, v[62:63], v[58:59] offset0:126 offset1:177
	v_pk_add_f32 v[58:59], v[84:85], v[72:73]
	v_pk_add_f32 v[62:63], v[66:67], v[72:73] neg_lo:[0,1] neg_hi:[0,1]
	v_pk_fma_f32 v[44:45], v[58:59], 0.5, v[44:45] op_sel_hi:[1,0,1] neg_lo:[1,0,0] neg_hi:[1,0,0]
	v_pk_add_f32 v[58:59], v[80:81], v[84:85] neg_lo:[0,1] neg_hi:[0,1]
	v_pk_mul_f32 v[56:57], v[56:57], s[16:17] op_sel_hi:[1,0]
	v_pk_add_f32 v[58:59], v[58:59], v[62:63]
	v_pk_mul_f32 v[50:51], v[50:51], s[18:19] op_sel_hi:[1,0]
	v_pk_add_f32 v[62:63], v[44:45], v[56:57] op_sel:[0,1] op_sel_hi:[1,0] neg_lo:[0,1] neg_hi:[0,1]
	v_pk_add_f32 v[44:45], v[44:45], v[56:57] op_sel:[0,1] op_sel_hi:[1,0]
	v_add_u32_e32 v41, 0x1000, v152
	v_pk_add_f32 v[44:45], v[44:45], v[50:51] op_sel:[0,1] op_sel_hi:[1,0] neg_lo:[0,1] neg_hi:[0,1]
	v_pk_add_f32 v[50:51], v[62:63], v[50:51] op_sel:[0,1] op_sel_hi:[1,0]
	v_mov_b32_e32 v57, v45
	v_mov_b32_e32 v56, v50
	;; [unrolled: 1-line block ×3, first 2 shown]
	v_pk_fma_f32 v[56:57], v[58:59], s[14:15], v[56:57] op_sel_hi:[1,0,1]
	v_pk_fma_f32 v[44:45], v[58:59], s[14:15], v[44:45] op_sel_hi:[1,0,1]
	v_mov_b32_e32 v47, v55
	ds_write2_b64 v41, v[56:57], v[44:45] offset0:100 offset1:151
	v_pk_fma_f32 v[44:45], v[60:61], s[14:15], v[46:47] op_sel_hi:[1,0,1]
	v_lshlrev_b32_e32 v41, 4, v42
	ds_write_b64 v152, v[44:45] offset:5712
	s_waitcnt lgkmcnt(0)
	s_barrier
	global_load_dwordx4 v[44:47], v41, s[10:11] offset:1904
	v_lshl_add_u64 v[50:51], s[10:11], 0, v[96:97]
	v_sub_co_u32_e32 v50, vcc, v50, v49
	s_nop 1
	v_subbrev_co_u32_e32 v51, vcc, 0, v51, vcc
	global_load_dwordx4 v[56:59], v[50:51], off offset:1904
	s_waitcnt vmcnt(1)
	v_mov_b32_e32 v70, v45
	global_load_dwordx4 v[40:43], v40, s[10:11] offset:1904
	s_nop 0
	global_load_dwordx4 v[48:51], v48, s[10:11] offset:1904
	ds_read2_b64 v[64:67], v52 offset0:50 offset1:101
	ds_read2_b64 v[98:101], v91 offset0:204 offset1:255
	;; [unrolled: 1-line block ×3, first 2 shown]
	v_mov_b32_e32 v53, v46
	ds_read2_b64 v[76:79], v52 offset0:152 offset1:203
	s_waitcnt lgkmcnt(3)
	v_pk_mul_f32 v[54:55], v[64:65], v[44:45]
	v_mov_b32_e32 v68, v65
	v_pk_mul_f32 v[64:65], v[64:65], v[70:71]
	s_waitcnt vmcnt(0)
	v_pk_mul_f32 v[112:113], v[66:67], v[48:49] op_sel:[0,1]
	v_pk_fma_f32 v[74:75], v[68:69], v[44:45], v[64:65]
	s_waitcnt lgkmcnt(1)
	v_pk_mul_f32 v[64:65], v[62:63], v[52:53] op_sel:[1,0] op_sel_hi:[0,1]
	v_pk_mul_f32 v[68:69], v[62:63], v[46:47]
	v_mov_b32_e32 v64, v54
	v_mov_b32_e32 v68, v55
	global_load_dwordx4 v[52:55], v0, s[10:11] offset:1904
	v_pk_add_f32 v[84:85], v[64:65], v[68:69] neg_lo:[0,1] neg_hi:[0,1]
	v_pk_mul_f32 v[64:65], v[62:63], v[46:47] op_sel:[1,0] op_sel_hi:[0,1]
	v_mov_b32_e32 v0, v65
	v_pk_fma_f32 v[86:87], v[62:63], v[46:47], v[0:1] op_sel:[1,0,0] op_sel_hi:[0,1,1]
	v_mov_b32_e32 v0, v41
	ds_read2_b64 v[68:71], v1 offset0:100 offset1:151
	s_waitcnt lgkmcnt(1)
	v_pk_mul_f32 v[62:63], v[76:77], v[0:1] op_sel:[1,0] op_sel_hi:[0,1]
	v_pk_mul_f32 v[0:1], v[76:77], v[40:41] op_sel:[1,0] op_sel_hi:[0,1]
	v_mov_b32_e32 v1, v0
	v_pk_fma_f32 v[0:1], v[76:77], v[40:41], v[0:1] op_sel:[1,0,0] op_sel_hi:[0,1,1]
	v_mov_b32_e32 v0, v43
	v_pk_fma_f32 v[102:103], v[76:77], v[40:41], v[62:63] neg_lo:[0,0,1] neg_hi:[0,0,1]
	s_waitcnt lgkmcnt(0)
	v_pk_mul_f32 v[62:63], v[70:71], v[0:1] op_sel:[1,0] op_sel_hi:[0,1]
	v_pk_fma_f32 v[104:105], v[70:71], v[42:43], v[62:63] neg_lo:[0,0,1] neg_hi:[0,0,1]
	v_pk_mul_f32 v[62:63], v[70:71], v[42:43] op_sel:[1,0] op_sel_hi:[0,1]
	v_mov_b32_e32 v63, v62
	v_pk_fma_f32 v[106:107], v[70:71], v[42:43], v[62:63] op_sel:[1,0,0] op_sel_hi:[0,1,1]
	ds_read2_b64 v[70:73], v91 offset1:51
	v_mov_b32_e32 v0, v59
	v_pk_mul_f32 v[62:63], v[100:101], v[56:57] op_sel:[0,1]
	v_pk_mul_f32 v[76:77], v[60:61], v[0:1] op_sel_hi:[1,0]
	v_pk_fma_f32 v[64:65], v[100:101], v[56:57], v[62:63] op_sel:[1,0,0] op_sel_hi:[0,1,1]
	v_pk_fma_f32 v[62:63], v[100:101], v[56:57], v[62:63] op_sel:[1,0,0] op_sel_hi:[0,0,1] neg_lo:[0,0,1] neg_hi:[0,0,1]
	v_pk_fma_f32 v[80:81], v[60:61], v[58:59], v[76:77] op_sel:[1,0,0] op_sel_hi:[0,1,1]
	v_pk_fma_f32 v[60:61], v[60:61], v[58:59], v[76:77] op_sel:[1,0,0] op_sel_hi:[0,0,1] neg_lo:[0,0,1] neg_hi:[0,0,1]
	v_mov_b32_e32 v81, v61
	v_mov_b32_e32 v76, v63
	;; [unrolled: 1-line block ×7, first 2 shown]
	v_pk_add_f32 v[62:63], v[76:77], v[60:61]
	v_pk_add_f32 v[108:109], v[84:85], v[0:1]
	v_pk_fma_f32 v[114:115], v[66:67], v[48:49], v[112:113] op_sel:[0,0,1] op_sel_hi:[1,1,0] neg_lo:[0,0,1] neg_hi:[0,0,1]
	v_pk_fma_f32 v[66:67], v[66:67], v[48:49], v[112:113] op_sel:[0,0,1] op_sel_hi:[1,0,0]
	v_mov_b32_e32 v0, v51
	s_waitcnt lgkmcnt(0)
	v_pk_fma_f32 v[62:63], v[62:63], 0.5, v[70:71] op_sel_hi:[1,0,1] neg_lo:[1,0,0] neg_hi:[1,0,0]
	v_pk_add_f32 v[64:65], v[64:65], v[80:81] neg_lo:[0,1] neg_hi:[0,1]
	v_mov_b32_e32 v115, v67
	v_pk_mul_f32 v[66:67], v[68:69], v[0:1] op_sel_hi:[1,0]
	v_pk_fma_f32 v[100:101], v[64:65], s[0:1], v[62:63] op_sel_hi:[1,0,1]
	v_pk_fma_f32 v[64:65], v[64:65], s[0:1], v[62:63] op_sel_hi:[1,0,1] neg_lo:[1,0,0] neg_hi:[1,0,0]
	v_pk_fma_f32 v[112:113], v[68:69], v[50:51], v[66:67] op_sel:[0,0,1] op_sel_hi:[1,1,0] neg_lo:[0,0,1] neg_hi:[0,0,1]
	v_pk_fma_f32 v[66:67], v[68:69], v[50:51], v[66:67] op_sel:[0,0,1] op_sel_hi:[1,0,0]
	v_mov_b32_e32 v63, v65
	ds_read2_b64 v[80:83], v91 offset0:102 offset1:153
	v_mov_b32_e32 v113, v67
	v_pk_add_f32 v[66:67], v[70:71], v[76:77]
	v_mov_b32_e32 v65, v74
	v_pk_add_f32 v[110:111], v[74:75], v[86:87]
	v_pk_add_f32 v[60:61], v[66:67], v[60:61]
	;; [unrolled: 1-line block ×4, first 2 shown]
	v_mov_b32_e32 v109, v110
	v_mov_b32_e32 v67, v69
	;; [unrolled: 1-line block ×6, first 2 shown]
	v_pk_add_f32 v[66:67], v[66:67], v[68:69]
	v_pk_fma_f32 v[68:69], v[108:109], 0.5, v[72:73] op_sel_hi:[1,0,1] neg_lo:[1,0,0] neg_hi:[1,0,0]
	v_pk_add_f32 v[70:71], v[74:75], v[86:87] neg_lo:[0,1] neg_hi:[0,1]
	v_pk_add_f32 v[74:75], v[114:115], v[112:113]
	v_pk_fma_f32 v[72:73], v[70:71], s[0:1], v[68:69] op_sel_hi:[1,0,1]
	v_pk_fma_f32 v[70:71], v[70:71], s[0:1], v[68:69] op_sel_hi:[1,0,1] neg_lo:[1,0,0] neg_hi:[1,0,0]
	v_mov_b32_e32 v68, v72
	v_mov_b32_e32 v69, v71
	;; [unrolled: 1-line block ×3, first 2 shown]
	s_waitcnt lgkmcnt(0)
	v_pk_add_f32 v[72:73], v[80:81], v[114:115]
	v_pk_fma_f32 v[74:75], v[74:75], 0.5, v[80:81] op_sel_hi:[1,0,1] neg_lo:[1,0,0] neg_hi:[1,0,0]
	ds_read_b64 v[80:81], v91 offset:5712
	v_mov_b32_e32 v103, v1
	v_mov_b32_e32 v105, v107
	v_pk_add_f32 v[76:77], v[114:115], v[112:113] neg_lo:[0,1] neg_hi:[0,1]
	v_mov_b32_e32 v62, v100
	v_pk_mul_f32 v[76:77], v[76:77], s[0:1] op_sel_hi:[1,0]
	v_mov_b32_e32 v65, v101
	v_pk_add_f32 v[108:109], v[74:75], v[76:77] op_sel:[0,1] op_sel_hi:[1,0]
	s_waitcnt vmcnt(0)
	v_pk_mul_f32 v[84:85], v[78:79], v[52:53] op_sel:[0,1]
	v_mov_b32_e32 v0, v55
	v_pk_fma_f32 v[86:87], v[78:79], v[52:53], v[84:85] op_sel:[0,0,1] op_sel_hi:[1,1,0] neg_lo:[0,0,1] neg_hi:[0,0,1]
	v_pk_fma_f32 v[78:79], v[78:79], v[52:53], v[84:85] op_sel:[0,0,1] op_sel_hi:[1,0,0]
	v_pk_add_f32 v[76:77], v[74:75], v[76:77] op_sel:[0,1] op_sel_hi:[1,0] neg_lo:[0,1] neg_hi:[0,1]
	v_mov_b32_e32 v87, v79
	s_waitcnt lgkmcnt(0)
	v_pk_mul_f32 v[78:79], v[80:81], v[0:1] op_sel_hi:[1,0]
	v_pk_add_f32 v[0:1], v[82:83], v[102:103]
	v_pk_fma_f32 v[110:111], v[80:81], v[54:55], v[78:79] op_sel:[0,0,1] op_sel_hi:[1,1,0] neg_lo:[0,0,1] neg_hi:[0,0,1]
	v_pk_fma_f32 v[78:79], v[80:81], v[54:55], v[78:79] op_sel:[0,0,1] op_sel_hi:[1,0,0]
	v_pk_add_f32 v[80:81], v[102:103], v[104:105] neg_lo:[0,1] neg_hi:[0,1]
	v_mov_b32_e32 v111, v79
	v_pk_add_f32 v[78:79], v[0:1], v[104:105]
	v_pk_add_f32 v[0:1], v[102:103], v[104:105]
	v_pk_mul_f32 v[80:81], v[80:81], s[0:1] op_sel_hi:[1,0]
	v_pk_fma_f32 v[0:1], v[0:1], 0.5, v[82:83] op_sel_hi:[1,0,1] neg_lo:[1,0,0] neg_hi:[1,0,0]
	v_mov_b32_e32 v75, v77
	v_pk_add_f32 v[84:85], v[0:1], v[80:81] op_sel:[0,1] op_sel_hi:[1,0]
	v_pk_add_f32 v[82:83], v[0:1], v[80:81] op_sel:[0,1] op_sel_hi:[1,0] neg_lo:[0,1] neg_hi:[0,1]
	v_pk_add_f32 v[0:1], v[98:99], v[86:87]
	v_mov_b32_e32 v80, v84
	v_mov_b32_e32 v81, v83
	v_mov_b32_e32 v83, v85
	v_pk_add_f32 v[84:85], v[0:1], v[110:111]
	v_pk_add_f32 v[0:1], v[86:87], v[110:111]
	v_pk_add_f32 v[86:87], v[86:87], v[110:111] neg_lo:[0,1] neg_hi:[0,1]
	v_pk_fma_f32 v[0:1], v[0:1], 0.5, v[98:99] op_sel_hi:[1,0,1] neg_lo:[1,0,0] neg_hi:[1,0,0]
	v_pk_mul_f32 v[86:87], v[86:87], s[0:1] op_sel_hi:[1,0]
	v_add_u32_e32 v77, 0x400, v93
	v_pk_add_f32 v[98:99], v[0:1], v[86:87] op_sel:[0,1] op_sel_hi:[1,0]
	v_pk_add_f32 v[0:1], v[0:1], v[86:87] op_sel:[0,1] op_sel_hi:[1,0] neg_lo:[0,1] neg_hi:[0,1]
	ds_write2_b64 v77, v[62:63], v[68:69] offset0:127 offset1:178
	v_add_u32_e32 v77, 0xc00, v93
	v_pk_add_f32 v[72:73], v[72:73], v[112:113]
	v_mov_b32_e32 v74, v108
	v_mov_b32_e32 v86, v98
	;; [unrolled: 1-line block ×4, first 2 shown]
	ds_write2_b64 v77, v[64:65], v[70:71] offset0:126 offset1:177
	v_mov_b32_e32 v77, v109
	ds_write2_b64 v93, v[60:61], v[66:67] offset1:51
	ds_write_b64 v93, v[72:73] offset:816
	ds_write_b64 v144, v[74:75] offset:2856
	;; [unrolled: 1-line block ×9, first 2 shown]
	s_waitcnt lgkmcnt(0)
	s_barrier
	s_and_saveexec_b64 s[0:1], s[2:3]
	s_cbranch_execz .LBB0_9
; %bb.8:
	v_mov_b32_e32 v95, v97
	v_lshl_add_u64 v[100:101], s[8:9], 0, v[94:95]
	v_add_co_u32_e32 v104, vcc, 0x1000, v100
	ds_read2_b64 v[96:99], v93 offset1:45
	s_nop 0
	v_addc_co_u32_e32 v105, vcc, 0, v101, vcc
	global_load_dwordx2 v[104:105], v[104:105], off offset:2024
	s_mov_b64 s[10:11], 0x17e8
	v_lshl_add_u64 v[102:103], v[100:101], 0, s[10:11]
	s_movk_i32 s10, 0x2000
	v_add_co_u32_e32 v100, vcc, s10, v100
	s_waitcnt vmcnt(0) lgkmcnt(0)
	v_mul_f32_e32 v88, v97, v105
	v_mul_f32_e32 v107, v96, v105
	v_fma_f32 v106, v96, v104, -v88
	v_fmac_f32_e32 v107, v97, v104
	global_load_dwordx2 v[96:97], v[102:103], off offset:360
	v_addc_co_u32_e32 v101, vcc, 0, v101, vcc
	s_waitcnt vmcnt(0)
	v_mul_f32_e32 v88, v99, v97
	v_mul_f32_e32 v105, v98, v97
	v_fma_f32 v104, v98, v96, -v88
	v_fmac_f32_e32 v105, v99, v96
	ds_write2_b64 v93, v[106:107], v[104:105] offset1:45
	global_load_dwordx2 v[104:105], v[102:103], off offset:720
	ds_read2_b64 v[96:99], v93 offset0:90 offset1:135
	s_waitcnt vmcnt(0) lgkmcnt(0)
	v_mul_f32_e32 v88, v97, v105
	v_mul_f32_e32 v107, v96, v105
	v_fma_f32 v106, v96, v104, -v88
	v_fmac_f32_e32 v107, v97, v104
	global_load_dwordx2 v[96:97], v[102:103], off offset:1080
	s_waitcnt vmcnt(0)
	v_mul_f32_e32 v88, v99, v97
	v_mul_f32_e32 v105, v98, v97
	v_fma_f32 v104, v98, v96, -v88
	v_fmac_f32_e32 v105, v99, v96
	ds_write2_b64 v93, v[106:107], v[104:105] offset0:90 offset1:135
	global_load_dwordx2 v[104:105], v[102:103], off offset:1440
	ds_read2_b64 v[96:99], v93 offset0:180 offset1:225
	s_waitcnt vmcnt(0) lgkmcnt(0)
	v_mul_f32_e32 v88, v97, v105
	v_mul_f32_e32 v107, v96, v105
	v_fma_f32 v106, v96, v104, -v88
	v_fmac_f32_e32 v107, v97, v104
	global_load_dwordx2 v[96:97], v[102:103], off offset:1800
	s_waitcnt vmcnt(0)
	v_mul_f32_e32 v88, v99, v97
	v_mul_f32_e32 v105, v98, v97
	v_fma_f32 v104, v98, v96, -v88
	v_fmac_f32_e32 v105, v99, v96
	ds_write2_b64 v93, v[106:107], v[104:105] offset0:180 offset1:225
	global_load_dwordx2 v[104:105], v[102:103], off offset:2160
	v_add_u32_e32 v88, 0x800, v93
	ds_read2_b64 v[96:99], v88 offset0:14 offset1:59
	s_waitcnt vmcnt(0) lgkmcnt(0)
	v_mul_f32_e32 v89, v97, v105
	v_mul_f32_e32 v107, v96, v105
	v_fma_f32 v106, v96, v104, -v89
	v_fmac_f32_e32 v107, v97, v104
	global_load_dwordx2 v[96:97], v[102:103], off offset:2520
	s_waitcnt vmcnt(0)
	v_mul_f32_e32 v89, v99, v97
	v_mul_f32_e32 v105, v98, v97
	v_fma_f32 v104, v98, v96, -v89
	v_fmac_f32_e32 v105, v99, v96
	ds_write2_b64 v88, v[106:107], v[104:105] offset0:14 offset1:59
	global_load_dwordx2 v[104:105], v[102:103], off offset:2880
	ds_read2_b64 v[96:99], v88 offset0:104 offset1:149
	s_waitcnt vmcnt(0) lgkmcnt(0)
	v_mul_f32_e32 v89, v97, v105
	v_mul_f32_e32 v107, v96, v105
	v_fma_f32 v106, v96, v104, -v89
	v_fmac_f32_e32 v107, v97, v104
	global_load_dwordx2 v[96:97], v[102:103], off offset:3240
	s_waitcnt vmcnt(0)
	v_mul_f32_e32 v89, v99, v97
	v_mul_f32_e32 v105, v98, v97
	v_fma_f32 v104, v98, v96, -v89
	v_fmac_f32_e32 v105, v99, v96
	ds_write2_b64 v88, v[106:107], v[104:105] offset0:104 offset1:149
	global_load_dwordx2 v[104:105], v[102:103], off offset:3600
	;; [unrolled: 14-line block ×3, first 2 shown]
	v_add_u32_e32 v88, 0x1000, v93
	ds_read2_b64 v[96:99], v88 offset0:28 offset1:73
	s_waitcnt vmcnt(0) lgkmcnt(0)
	v_mul_f32_e32 v89, v97, v103
	v_mul_f32_e32 v105, v96, v103
	v_fma_f32 v104, v96, v102, -v89
	v_fmac_f32_e32 v105, v97, v102
	global_load_dwordx2 v[96:97], v[100:101], off offset:2608
	s_waitcnt vmcnt(0)
	v_mul_f32_e32 v89, v99, v97
	v_mul_f32_e32 v103, v98, v97
	v_fma_f32 v102, v98, v96, -v89
	v_fmac_f32_e32 v103, v99, v96
	ds_write2_b64 v88, v[104:105], v[102:103] offset0:28 offset1:73
	global_load_dwordx2 v[102:103], v[100:101], off offset:2968
	ds_read2_b64 v[96:99], v88 offset0:118 offset1:163
	s_waitcnt vmcnt(0) lgkmcnt(0)
	v_mul_f32_e32 v89, v97, v103
	v_mul_f32_e32 v105, v96, v103
	v_fma_f32 v104, v96, v102, -v89
	v_fmac_f32_e32 v105, v97, v102
	global_load_dwordx2 v[96:97], v[100:101], off offset:3328
	s_waitcnt vmcnt(0)
	v_mul_f32_e32 v89, v99, v97
	v_mul_f32_e32 v103, v98, v97
	v_fma_f32 v102, v98, v96, -v89
	v_fmac_f32_e32 v103, v99, v96
	global_load_dwordx2 v[98:99], v[100:101], off offset:3688
	ds_read_b64 v[96:97], v93 offset:5760
	ds_write2_b64 v88, v[104:105], v[102:103] offset0:118 offset1:163
	s_waitcnt vmcnt(0) lgkmcnt(1)
	v_mul_f32_e32 v88, v97, v99
	v_mul_f32_e32 v101, v96, v99
	v_fma_f32 v100, v96, v98, -v88
	v_fmac_f32_e32 v101, v97, v98
	ds_write_b64 v93, v[100:101] offset:5760
.LBB0_9:
	s_or_b64 exec, exec, s[0:1]
	s_waitcnt lgkmcnt(0)
	s_barrier
	s_and_saveexec_b64 s[0:1], s[2:3]
	s_cbranch_execz .LBB0_11
; %bb.10:
	v_add_u32_e32 v0, 0x800, v93
	ds_read2_b64 v[60:63], v93 offset1:45
	ds_read2_b64 v[64:67], v93 offset0:90 offset1:135
	ds_read2_b64 v[68:71], v93 offset0:180 offset1:225
	;; [unrolled: 1-line block ×5, first 2 shown]
	v_add_u32_e32 v0, 0x1000, v93
	ds_read2_b64 v[84:87], v0 offset0:28 offset1:73
	ds_read2_b64 v[0:3], v0 offset0:118 offset1:163
	ds_read_b64 v[214:215], v93 offset:5760
.LBB0_11:
	s_or_b64 exec, exec, s[0:1]
	v_mov_b32_e32 v142, v20
	v_mov_b32_e32 v143, v20
	;; [unrolled: 1-line block ×72, first 2 shown]
	v_add_u32_e32 v95, 0x330, v144
	v_add_u32_e32 v89, 0x4c8, v144
	;; [unrolled: 1-line block ×3, first 2 shown]
	s_waitcnt lgkmcnt(0)
	s_barrier
	s_and_saveexec_b64 s[0:1], s[2:3]
	s_cbranch_execz .LBB0_13
; %bb.12:
	v_accvgpr_write_b32 a1, v145
	v_pk_add_f32 v[144:145], v[62:63], v[60:61]
	v_pk_add_f32 v[238:239], v[62:63], v[214:215] neg_lo:[0,1] neg_hi:[0,1]
	v_pk_add_f32 v[144:145], v[64:65], v[144:145]
	s_mov_b32 s28, 0xbeb8f4ab
	v_pk_add_f32 v[144:145], v[66:67], v[144:145]
	v_pk_add_f32 v[236:237], v[214:215], v[62:63]
	;; [unrolled: 1-line block ×5, first 2 shown]
	v_pk_add_f32 v[230:231], v[66:67], v[0:1] neg_lo:[0,1] neg_hi:[0,1]
	v_pk_add_f32 v[144:145], v[72:73], v[144:145]
	s_mov_b32 s18, 0x3f6eb680
	v_pk_add_f32 v[144:145], v[74:75], v[144:145]
	v_pk_add_f32 v[234:235], v[64:65], v[2:3] neg_lo:[0,1] neg_hi:[0,1]
	v_pk_add_f32 v[144:145], v[76:77], v[144:145]
	s_mov_b32 s42, 0xbf2c7751
	v_pk_add_f32 v[144:145], v[78:79], v[144:145]
	v_pk_add_f32 v[232:233], v[2:3], v[64:65]
	;; [unrolled: 1-line block ×3, first 2 shown]
	s_mov_b32 s16, 0x3f3d2fb0
	v_pk_add_f32 v[144:145], v[82:83], v[144:145]
	s_mov_b32 s50, 0xbf65296c
	v_pk_add_f32 v[144:145], v[84:85], v[144:145]
	s_mov_b32 s14, 0x3ee437d1
	v_pk_add_f32 v[144:145], v[86:87], v[144:145]
	v_pk_add_f32 v[226:227], v[68:69], v[86:87] neg_lo:[0,1] neg_hi:[0,1]
	v_pk_add_f32 v[144:145], v[0:1], v[144:145]
	v_pk_mul_f32 v[0:1], v[238:239], s[28:29] op_sel_hi:[1,0]
	v_pk_add_f32 v[144:145], v[2:3], v[144:145]
	v_pk_fma_f32 v[62:63], v[236:237], s[18:19], v[0:1] op_sel:[0,0,1] op_sel_hi:[1,0,0] neg_lo:[0,0,1] neg_hi:[0,0,1]
	v_pk_fma_f32 v[2:3], v[236:237], s[18:19], v[0:1] op_sel:[0,0,1] op_sel_hi:[1,0,0]
	v_mov_b32_e32 v1, v63
	v_accvgpr_write_b32 a14, v62
	v_pk_mul_f32 v[62:63], v[234:235], s[42:43] op_sel_hi:[1,0]
	v_mov_b32_e32 v0, v2
	v_accvgpr_write_b32 a15, v3
	v_pk_fma_f32 v[2:3], v[232:233], s[16:17], v[62:63] op_sel:[0,0,1] op_sel_hi:[1,0,0]
	v_pk_fma_f32 v[64:65], v[232:233], s[16:17], v[62:63] op_sel:[0,0,1] op_sel_hi:[1,0,0] neg_lo:[0,0,1] neg_hi:[0,0,1]
	v_pk_add_f32 v[0:1], v[60:61], v[0:1]
	v_mov_b32_e32 v62, v2
	v_mov_b32_e32 v63, v65
	v_pk_add_f32 v[0:1], v[62:63], v[0:1]
	v_pk_mul_f32 v[62:63], v[230:231], s[50:51] op_sel_hi:[1,0]
	v_accvgpr_write_b32 a17, v3
	v_accvgpr_write_b32 a16, v64
	v_pk_fma_f32 v[2:3], v[228:229], s[14:15], v[62:63] op_sel:[0,0,1] op_sel_hi:[1,0,0]
	v_pk_fma_f32 v[64:65], v[228:229], s[14:15], v[62:63] op_sel:[0,0,1] op_sel_hi:[1,0,0] neg_lo:[0,0,1] neg_hi:[0,0,1]
	v_mov_b32_e32 v62, v2
	v_mov_b32_e32 v63, v65
	s_mov_b32 s40, 0xbf7ee86f
	v_pk_add_f32 v[220:221], v[86:87], v[68:69]
	v_pk_add_f32 v[0:1], v[62:63], v[0:1]
	s_mov_b32 s10, 0x3dbcf732
	v_pk_mul_f32 v[62:63], v[226:227], s[40:41] op_sel_hi:[1,0]
	v_accvgpr_write_b32 a19, v3
	v_accvgpr_write_b32 a18, v64
	v_pk_fma_f32 v[2:3], v[220:221], s[10:11], v[62:63] op_sel:[0,0,1] op_sel_hi:[1,0,0]
	v_pk_fma_f32 v[64:65], v[220:221], s[10:11], v[62:63] op_sel:[0,0,1] op_sel_hi:[1,0,0] neg_lo:[0,0,1] neg_hi:[0,0,1]
	v_pk_add_f32 v[144:145], v[214:215], v[144:145]
	v_pk_add_f32 v[214:215], v[70:71], v[84:85] neg_lo:[0,1] neg_hi:[0,1]
	v_mov_b32_e32 v62, v2
	v_mov_b32_e32 v63, v65
	s_mov_b32 s22, 0xbf763a35
	v_pk_add_f32 v[208:209], v[84:85], v[70:71]
	v_pk_add_f32 v[0:1], v[62:63], v[0:1]
	s_mov_b32 s20, 0xbe8c1d8e
	v_pk_mul_f32 v[62:63], v[214:215], s[22:23] op_sel_hi:[1,0]
	v_pk_add_f32 v[184:185], v[78:79], v[76:77]
	v_pk_add_f32 v[190:191], v[76:77], v[78:79] neg_lo:[0,1] neg_hi:[0,1]
	v_accvgpr_write_b32 a21, v3
	v_pk_fma_f32 v[2:3], v[208:209], s[20:21], v[62:63] op_sel:[0,0,1] op_sel_hi:[1,0,0]
	v_pk_fma_f32 v[76:77], v[208:209], s[20:21], v[62:63] op_sel:[0,0,1] op_sel_hi:[1,0,0] neg_lo:[0,0,1] neg_hi:[0,0,1]
	v_pk_add_f32 v[206:207], v[72:73], v[82:83] neg_lo:[0,1] neg_hi:[0,1]
	v_mov_b32_e32 v62, v2
	v_mov_b32_e32 v63, v77
	s_mov_b32 s26, 0xbf4c4adb
	v_pk_add_f32 v[200:201], v[82:83], v[72:73]
	v_pk_add_f32 v[0:1], v[62:63], v[0:1]
	s_mov_b32 s24, 0xbf1a4643
	v_pk_mul_f32 v[62:63], v[206:207], s[26:27] op_sel_hi:[1,0]
	v_pk_add_f32 v[192:193], v[80:81], v[74:75]
	v_pk_add_f32 v[198:199], v[74:75], v[80:81] neg_lo:[0,1] neg_hi:[0,1]
	v_accvgpr_write_b32 a23, v3
	v_pk_fma_f32 v[2:3], v[200:201], s[24:25], v[62:63] op_sel:[0,0,1] op_sel_hi:[1,0,0]
	v_pk_fma_f32 v[80:81], v[200:201], s[24:25], v[62:63] op_sel:[0,0,1] op_sel_hi:[1,0,0] neg_lo:[0,0,1] neg_hi:[0,0,1]
	v_mov_b32_e32 v62, v2
	v_mov_b32_e32 v63, v81
	v_pk_add_f32 v[0:1], v[62:63], v[0:1]
	s_mov_b32 s30, 0xbf59a7d5
	v_pk_mul_f32 v[62:63], v[198:199], s[34:35] op_sel_hi:[1,0]
	v_accvgpr_write_b32 a25, v3
	v_pk_fma_f32 v[2:3], v[192:193], s[30:31], v[62:63] op_sel:[0,0,1] op_sel_hi:[1,0,0]
	v_pk_fma_f32 v[84:85], v[192:193], s[30:31], v[62:63] op_sel:[0,0,1] op_sel_hi:[1,0,0] neg_lo:[0,0,1] neg_hi:[0,0,1]
	v_mov_b32_e32 v62, v2
	v_mov_b32_e32 v63, v85
	s_mov_b32 s38, 0xbe3c28d5
	v_pk_add_f32 v[0:1], v[62:63], v[0:1]
	s_mov_b32 s36, 0xbf7ba420
	v_pk_mul_f32 v[62:63], v[190:191], s[38:39] op_sel_hi:[1,0]
	v_accvgpr_write_b32 a27, v3
	v_pk_fma_f32 v[2:3], v[184:185], s[36:37], v[62:63] op_sel:[0,0,1] op_sel_hi:[1,0,0]
	v_pk_fma_f32 v[72:73], v[184:185], s[36:37], v[62:63] op_sel:[0,0,1] op_sel_hi:[1,0,0] neg_lo:[0,0,1] neg_hi:[0,0,1]
	v_mov_b32_e32 v62, v2
	v_mov_b32_e32 v63, v73
	v_accvgpr_write_b32 a0, v90
	v_lshl_add_u32 v90, v149, 3, v148
	v_pk_add_f32 v[0:1], v[62:63], v[0:1]
	ds_write2_b64 v90, v[144:145], v[0:1] offset1:1
	v_pk_mul_f32 v[0:1], v[238:239], s[42:43] op_sel_hi:[1,0]
	v_accvgpr_write_b32 a29, v3
	v_pk_fma_f32 v[2:3], v[236:237], s[16:17], v[0:1] op_sel:[0,0,1] op_sel_hi:[1,0,0]
	v_mov_b32_e32 v73, v146
	v_mov_b32_e32 v77, v147
	v_pk_fma_f32 v[146:147], v[236:237], s[16:17], v[0:1] op_sel:[0,0,1] op_sel_hi:[1,0,0] neg_lo:[0,0,1] neg_hi:[0,0,1]
	v_pk_mul_f32 v[62:63], v[234:235], s[40:41] op_sel_hi:[1,0]
	v_mov_b32_e32 v0, v2
	v_accvgpr_write_b32 a31, v3
	v_mov_b32_e32 v1, v147
	v_pk_fma_f32 v[2:3], v[232:233], s[10:11], v[62:63] op_sel:[0,0,1] op_sel_hi:[1,0,0]
	v_mov_b32_e32 v81, v150
	v_mov_b32_e32 v85, v151
	v_pk_fma_f32 v[150:151], v[232:233], s[10:11], v[62:63] op_sel:[0,0,1] op_sel_hi:[1,0,0] neg_lo:[0,0,1] neg_hi:[0,0,1]
	v_pk_add_f32 v[0:1], v[60:61], v[0:1]
	v_mov_b32_e32 v62, v2
	v_mov_b32_e32 v63, v151
	v_pk_add_f32 v[0:1], v[62:63], v[0:1]
	v_pk_mul_f32 v[62:63], v[230:231], s[26:27] op_sel_hi:[1,0]
	v_accvgpr_write_b32 a33, v3
	v_pk_fma_f32 v[2:3], v[228:229], s[24:25], v[62:63] op_sel:[0,0,1] op_sel_hi:[1,0,0]
	v_pk_fma_f32 v[154:155], v[228:229], s[24:25], v[62:63] op_sel:[0,0,1] op_sel_hi:[1,0,0] neg_lo:[0,0,1] neg_hi:[0,0,1]
	v_mov_b32_e32 v62, v2
	v_mov_b32_e32 v63, v155
	v_pk_add_f32 v[0:1], v[62:63], v[0:1]
	v_pk_mul_f32 v[62:63], v[226:227], s[38:39] op_sel_hi:[1,0]
	v_accvgpr_write_b32 a35, v3
	v_pk_fma_f32 v[2:3], v[220:221], s[36:37], v[62:63] op_sel:[0,0,1] op_sel_hi:[1,0,0]
	v_pk_fma_f32 v[158:159], v[220:221], s[36:37], v[62:63] op_sel:[0,0,1] op_sel_hi:[1,0,0] neg_lo:[0,0,1] neg_hi:[0,0,1]
	v_mov_b32_e32 v62, v2
	v_mov_b32_e32 v63, v159
	s_mov_b32 s54, 0x3f06c442
	v_pk_add_f32 v[0:1], v[62:63], v[0:1]
	v_pk_mul_f32 v[62:63], v[214:215], s[54:55] op_sel_hi:[1,0]
	v_accvgpr_write_b32 a37, v3
	v_pk_fma_f32 v[2:3], v[208:209], s[30:31], v[62:63] op_sel:[0,0,1] op_sel_hi:[1,0,0]
	v_pk_fma_f32 v[162:163], v[208:209], s[30:31], v[62:63] op_sel:[0,0,1] op_sel_hi:[1,0,0] neg_lo:[0,0,1] neg_hi:[0,0,1]
	v_mov_b32_e32 v62, v2
	v_mov_b32_e32 v63, v163
	s_mov_b32 s52, 0x3f763a35
	;; [unrolled: 8-line block ×3, first 2 shown]
	v_pk_add_f32 v[0:1], v[62:63], v[0:1]
	v_pk_mul_f32 v[62:63], v[198:199], s[44:45] op_sel_hi:[1,0]
	v_accvgpr_write_b32 a41, v3
	v_pk_fma_f32 v[2:3], v[192:193], s[14:15], v[62:63] op_sel:[0,0,1] op_sel_hi:[1,0,0]
	v_pk_fma_f32 v[170:171], v[192:193], s[14:15], v[62:63] op_sel:[0,0,1] op_sel_hi:[1,0,0] neg_lo:[0,0,1] neg_hi:[0,0,1]
	v_mov_b32_e32 v62, v2
	v_mov_b32_e32 v63, v171
	v_pk_add_f32 v[0:1], v[62:63], v[0:1]
	v_pk_mul_f32 v[62:63], v[190:191], s[46:47] op_sel_hi:[1,0]
	v_accvgpr_write_b32 a43, v3
	v_pk_fma_f32 v[2:3], v[184:185], s[18:19], v[62:63] op_sel:[0,0,1] op_sel_hi:[1,0,0]
	v_pk_fma_f32 v[174:175], v[184:185], s[18:19], v[62:63] op_sel:[0,0,1] op_sel_hi:[1,0,0] neg_lo:[0,0,1] neg_hi:[0,0,1]
	v_mov_b32_e32 v62, v2
	v_mov_b32_e32 v63, v175
	v_pk_add_f32 v[0:1], v[62:63], v[0:1]
	v_pk_mul_f32 v[62:63], v[238:239], s[50:51] op_sel_hi:[1,0]
	v_accvgpr_write_b32 a45, v3
	v_pk_fma_f32 v[2:3], v[236:237], s[14:15], v[62:63] op_sel:[0,0,1] op_sel_hi:[1,0,0]
	v_pk_fma_f32 v[178:179], v[236:237], s[14:15], v[62:63] op_sel:[0,0,1] op_sel_hi:[1,0,0] neg_lo:[0,0,1] neg_hi:[0,0,1]
	v_pk_mul_f32 v[66:67], v[234:235], s[26:27] op_sel_hi:[1,0]
	v_mov_b32_e32 v62, v2
	v_mov_b32_e32 v147, v3
	;; [unrolled: 1-line block ×3, first 2 shown]
	v_pk_fma_f32 v[2:3], v[232:233], s[24:25], v[66:67] op_sel:[0,0,1] op_sel_hi:[1,0,0]
	v_pk_fma_f32 v[182:183], v[232:233], s[24:25], v[66:67] op_sel:[0,0,1] op_sel_hi:[1,0,0] neg_lo:[0,0,1] neg_hi:[0,0,1]
	v_pk_add_f32 v[62:63], v[60:61], v[62:63]
	v_mov_b32_e32 v66, v2
	v_mov_b32_e32 v67, v183
	s_mov_b32 s48, 0x3e3c28d5
	v_pk_add_f32 v[62:63], v[66:67], v[62:63]
	v_pk_mul_f32 v[66:67], v[230:231], s[48:49] op_sel_hi:[1,0]
	v_mov_b32_e32 v151, v3
	v_pk_fma_f32 v[2:3], v[228:229], s[36:37], v[66:67] op_sel:[0,0,1] op_sel_hi:[1,0,0]
	v_pk_fma_f32 v[188:189], v[228:229], s[36:37], v[66:67] op_sel:[0,0,1] op_sel_hi:[1,0,0] neg_lo:[0,0,1] neg_hi:[0,0,1]
	v_mov_b32_e32 v66, v2
	v_mov_b32_e32 v67, v189
	v_pk_add_f32 v[62:63], v[66:67], v[62:63]
	v_pk_mul_f32 v[66:67], v[226:227], s[52:53] op_sel_hi:[1,0]
	v_mov_b32_e32 v155, v3
	v_pk_fma_f32 v[2:3], v[220:221], s[20:21], v[66:67] op_sel:[0,0,1] op_sel_hi:[1,0,0]
	v_pk_fma_f32 v[196:197], v[220:221], s[20:21], v[66:67] op_sel:[0,0,1] op_sel_hi:[1,0,0] neg_lo:[0,0,1] neg_hi:[0,0,1]
	v_mov_b32_e32 v66, v2
	v_mov_b32_e32 v67, v197
	s_mov_b32 s48, 0x3f2c7751
	v_pk_add_f32 v[62:63], v[66:67], v[62:63]
	v_pk_mul_f32 v[66:67], v[214:215], s[48:49] op_sel_hi:[1,0]
	v_mov_b32_e32 v159, v3
	v_pk_fma_f32 v[2:3], v[208:209], s[16:17], v[66:67] op_sel:[0,0,1] op_sel_hi:[1,0,0]
	v_pk_fma_f32 v[204:205], v[208:209], s[16:17], v[66:67] op_sel:[0,0,1] op_sel_hi:[1,0,0] neg_lo:[0,0,1] neg_hi:[0,0,1]
	v_mov_b32_e32 v66, v2
	v_mov_b32_e32 v67, v205
	v_pk_add_f32 v[62:63], v[66:67], v[62:63]
	v_pk_mul_f32 v[66:67], v[206:207], s[28:29] op_sel_hi:[1,0]
	v_mov_b32_e32 v163, v3
	v_pk_fma_f32 v[2:3], v[200:201], s[18:19], v[66:67] op_sel:[0,0,1] op_sel_hi:[1,0,0]
	v_pk_fma_f32 v[212:213], v[200:201], s[18:19], v[66:67] op_sel:[0,0,1] op_sel_hi:[1,0,0] neg_lo:[0,0,1] neg_hi:[0,0,1]
	v_mov_b32_e32 v66, v2
	v_mov_b32_e32 v67, v213
	;; [unrolled: 7-line block ×4, first 2 shown]
	v_pk_add_f32 v[62:63], v[66:67], v[62:63]
	ds_write2_b64 v90, v[0:1], v[62:63] offset0:2 offset1:3
	v_pk_mul_f32 v[0:1], v[238:239], s[40:41] op_sel_hi:[1,0]
	v_mov_b32_e32 v175, v3
	v_pk_fma_f32 v[2:3], v[236:237], s[10:11], v[0:1] op_sel:[0,0,1] op_sel_hi:[1,0,0]
	v_pk_fma_f32 v[242:243], v[236:237], s[10:11], v[0:1] op_sel:[0,0,1] op_sel_hi:[1,0,0] neg_lo:[0,0,1] neg_hi:[0,0,1]
	v_pk_mul_f32 v[62:63], v[234:235], s[38:39] op_sel_hi:[1,0]
	v_mov_b32_e32 v0, v2
	v_mov_b32_e32 v179, v3
	;; [unrolled: 1-line block ×3, first 2 shown]
	v_pk_fma_f32 v[2:3], v[232:233], s[36:37], v[62:63] op_sel:[0,0,1] op_sel_hi:[1,0,0]
	v_pk_fma_f32 v[246:247], v[232:233], s[36:37], v[62:63] op_sel:[0,0,1] op_sel_hi:[1,0,0] neg_lo:[0,0,1] neg_hi:[0,0,1]
	v_pk_add_f32 v[0:1], v[60:61], v[0:1]
	v_mov_b32_e32 v62, v2
	v_mov_b32_e32 v63, v247
	v_pk_add_f32 v[0:1], v[62:63], v[0:1]
	v_pk_mul_f32 v[62:63], v[230:231], s[52:53] op_sel_hi:[1,0]
	v_mov_b32_e32 v183, v3
	v_pk_fma_f32 v[2:3], v[228:229], s[20:21], v[62:63] op_sel:[0,0,1] op_sel_hi:[1,0,0]
	v_pk_fma_f32 v[250:251], v[228:229], s[20:21], v[62:63] op_sel:[0,0,1] op_sel_hi:[1,0,0] neg_lo:[0,0,1] neg_hi:[0,0,1]
	v_mov_b32_e32 v62, v2
	v_mov_b32_e32 v63, v251
	v_pk_add_f32 v[0:1], v[62:63], v[0:1]
	v_pk_mul_f32 v[62:63], v[226:227], s[46:47] op_sel_hi:[1,0]
	v_mov_b32_e32 v189, v3
	v_pk_fma_f32 v[2:3], v[220:221], s[18:19], v[62:63] op_sel:[0,0,1] op_sel_hi:[1,0,0]
	v_pk_fma_f32 v[254:255], v[220:221], s[18:19], v[62:63] op_sel:[0,0,1] op_sel_hi:[1,0,0] neg_lo:[0,0,1] neg_hi:[0,0,1]
	v_mov_b32_e32 v62, v2
	v_mov_b32_e32 v63, v255
	v_pk_add_f32 v[62:63], v[62:63], v[0:1]
	v_pk_mul_f32 v[0:1], v[214:215], s[50:51] op_sel_hi:[1,0]
	s_mov_b32 s56, 0x3f4c4adb
	v_pk_fma_f32 v[66:67], v[208:209], s[14:15], v[0:1] op_sel:[0,0,1] op_sel_hi:[1,0,0]
	v_pk_fma_f32 v[0:1], v[208:209], s[14:15], v[0:1] op_sel:[0,0,1] op_sel_hi:[1,0,0] neg_lo:[0,0,1] neg_hi:[0,0,1]
	v_mov_b32_e32 v205, v67
	v_mov_b32_e32 v67, v1
	v_pk_add_f32 v[66:67], v[66:67], v[62:63]
	v_pk_mul_f32 v[62:63], v[206:207], s[34:35] op_sel_hi:[1,0]
	v_mov_b32_e32 v197, v3
	v_pk_fma_f32 v[70:71], v[200:201], s[30:31], v[62:63] op_sel:[0,0,1] op_sel_hi:[1,0,0]
	v_pk_fma_f32 v[62:63], v[200:201], s[30:31], v[62:63] op_sel:[0,0,1] op_sel_hi:[1,0,0] neg_lo:[0,0,1] neg_hi:[0,0,1]
	v_mov_b32_e32 v213, v71
	v_mov_b32_e32 v71, v63
	v_pk_add_f32 v[70:71], v[70:71], v[66:67]
	v_pk_mul_f32 v[66:67], v[198:199], s[56:57] op_sel_hi:[1,0]
	v_accvgpr_write_b32 a20, v64
	v_pk_fma_f32 v[74:75], v[192:193], s[24:25], v[66:67] op_sel:[0,0,1] op_sel_hi:[1,0,0]
	v_pk_fma_f32 v[66:67], v[192:193], s[24:25], v[66:67] op_sel:[0,0,1] op_sel_hi:[1,0,0] neg_lo:[0,0,1] neg_hi:[0,0,1]
	v_mov_b32_e32 v219, v75
	v_mov_b32_e32 v75, v67
	v_pk_add_f32 v[74:75], v[74:75], v[70:71]
	v_pk_mul_f32 v[70:71], v[190:191], s[48:49] op_sel_hi:[1,0]
	v_mov_b32_e32 v1, v152
	v_pk_fma_f32 v[78:79], v[184:185], s[16:17], v[70:71] op_sel:[0,0,1] op_sel_hi:[1,0,0]
	v_pk_fma_f32 v[70:71], v[184:185], s[16:17], v[70:71] op_sel:[0,0,1] op_sel_hi:[1,0,0] neg_lo:[0,0,1] neg_hi:[0,0,1]
	v_mov_b32_e32 v225, v79
	v_mov_b32_e32 v79, v71
	v_pk_add_f32 v[2:3], v[78:79], v[74:75]
	v_pk_mul_f32 v[74:75], v[238:239], s[22:23] op_sel_hi:[1,0]
	v_mov_b32_e32 v63, v153
	v_pk_fma_f32 v[78:79], v[236:237], s[20:21], v[74:75] op_sel:[0,0,1] op_sel_hi:[1,0,0]
	v_pk_fma_f32 v[74:75], v[236:237], s[20:21], v[74:75] op_sel:[0,0,1] op_sel_hi:[1,0,0] neg_lo:[0,0,1] neg_hi:[0,0,1]
	v_mov_b32_e32 v243, v79
	v_mov_b32_e32 v79, v75
	v_pk_add_f32 v[82:83], v[60:61], v[78:79]
	v_pk_mul_f32 v[78:79], v[234:235], s[54:55] op_sel_hi:[1,0]
	v_accvgpr_write_b32 a2, v96
	v_pk_fma_f32 v[86:87], v[232:233], s[30:31], v[78:79] op_sel:[0,0,1] op_sel_hi:[1,0,0]
	v_pk_fma_f32 v[78:79], v[232:233], s[30:31], v[78:79] op_sel:[0,0,1] op_sel_hi:[1,0,0] neg_lo:[0,0,1] neg_hi:[0,0,1]
	v_mov_b32_e32 v247, v87
	v_mov_b32_e32 v87, v79
	v_pk_add_f32 v[86:87], v[86:87], v[82:83]
	v_pk_mul_f32 v[82:83], v[230:231], s[48:49] op_sel_hi:[1,0]
	v_accvgpr_write_b32 a3, v97
	v_pk_fma_f32 v[144:145], v[228:229], s[16:17], v[82:83] op_sel:[0,0,1] op_sel_hi:[1,0,0]
	v_pk_fma_f32 v[82:83], v[228:229], s[16:17], v[82:83] op_sel:[0,0,1] op_sel_hi:[1,0,0] neg_lo:[0,0,1] neg_hi:[0,0,1]
	v_mov_b32_e32 v251, v145
	v_mov_b32_e32 v145, v83
	v_pk_add_f32 v[144:145], v[144:145], v[86:87]
	v_pk_mul_f32 v[86:87], v[226:227], s[50:51] op_sel_hi:[1,0]
	s_mov_b32 s50, 0x3f7ee86f
	v_pk_fma_f32 v[148:149], v[220:221], s[14:15], v[86:87] op_sel:[0,0,1] op_sel_hi:[1,0,0]
	v_pk_fma_f32 v[86:87], v[220:221], s[14:15], v[86:87] op_sel:[0,0,1] op_sel_hi:[1,0,0] neg_lo:[0,0,1] neg_hi:[0,0,1]
	v_mov_b32_e32 v255, v149
	v_mov_b32_e32 v149, v87
	v_pk_add_f32 v[148:149], v[148:149], v[144:145]
	v_pk_mul_f32 v[144:145], v[214:215], s[38:39] op_sel_hi:[1,0]
	v_pk_mul_f32 v[244:245], v[234:235], s[52:53] op_sel_hi:[1,0]
	v_pk_fma_f32 v[64:65], v[208:209], s[36:37], v[144:145] op_sel:[0,0,1] op_sel_hi:[1,0,0]
	v_pk_fma_f32 v[144:145], v[208:209], s[36:37], v[144:145] op_sel:[0,0,1] op_sel_hi:[1,0,0] neg_lo:[0,0,1] neg_hi:[0,0,1]
	v_mov_b32_e32 v152, v64
	v_mov_b32_e32 v153, v145
	v_pk_add_f32 v[152:153], v[152:153], v[148:149]
	v_pk_mul_f32 v[148:149], v[206:207], s[50:51] op_sel_hi:[1,0]
	v_pk_mul_f32 v[252:253], v[234:235], s[44:45] op_sel_hi:[1,0]
	v_pk_fma_f32 v[156:157], v[200:201], s[10:11], v[148:149] op_sel:[0,0,1] op_sel_hi:[1,0,0]
	v_pk_fma_f32 v[148:149], v[200:201], s[10:11], v[148:149] op_sel:[0,0,1] op_sel_hi:[1,0,0] neg_lo:[0,0,1] neg_hi:[0,0,1]
	v_accvgpr_write_b32 a49, v157
	v_mov_b32_e32 v157, v149
	v_pk_add_f32 v[156:157], v[156:157], v[152:153]
	v_pk_mul_f32 v[152:153], v[198:199], s[28:29] op_sel_hi:[1,0]
	v_accvgpr_write_b32 a47, v65
	v_pk_fma_f32 v[164:165], v[192:193], s[18:19], v[152:153] op_sel:[0,0,1] op_sel_hi:[1,0,0]
	v_pk_fma_f32 v[152:153], v[192:193], s[18:19], v[152:153] op_sel:[0,0,1] op_sel_hi:[1,0,0] neg_lo:[0,0,1] neg_hi:[0,0,1]
	v_accvgpr_write_b32 a51, v165
	v_mov_b32_e32 v165, v153
	v_pk_add_f32 v[96:97], v[164:165], v[156:157]
	v_pk_mul_f32 v[156:157], v[190:191], s[26:27] op_sel_hi:[1,0]
	v_pk_fma_f32 v[240:241], v[232:233], s[14:15], v[252:253] op_sel:[0,0,1] op_sel_hi:[1,0,0]
	v_pk_fma_f32 v[164:165], v[184:185], s[24:25], v[156:157] op_sel:[0,0,1] op_sel_hi:[1,0,0]
	v_pk_fma_f32 v[156:157], v[184:185], s[24:25], v[156:157] op_sel:[0,0,1] op_sel_hi:[1,0,0] neg_lo:[0,0,1] neg_hi:[0,0,1]
	v_accvgpr_write_b32 a53, v165
	v_mov_b32_e32 v165, v157
	v_pk_add_f32 v[96:97], v[164:165], v[96:97]
	ds_write2_b64 v90, v[2:3], v[96:97] offset0:4 offset1:5
	v_pk_mul_f32 v[2:3], v[238:239], s[26:27] op_sel_hi:[1,0]
	v_pk_fma_f32 v[96:97], v[232:233], s[20:21], v[244:245] op_sel:[0,0,1] op_sel_hi:[1,0,0]
	v_pk_fma_f32 v[164:165], v[236:237], s[24:25], v[2:3] op_sel:[0,0,1] op_sel_hi:[1,0,0]
	v_pk_fma_f32 v[2:3], v[236:237], s[24:25], v[2:3] op_sel:[0,0,1] op_sel_hi:[1,0,0] neg_lo:[0,0,1] neg_hi:[0,0,1]
	v_mov_b32_e32 v75, v165
	v_mov_b32_e32 v165, v3
	v_pk_fma_f32 v[244:245], v[232:233], s[20:21], v[244:245] op_sel:[0,0,1] op_sel_hi:[1,0,0] neg_lo:[0,0,1] neg_hi:[0,0,1]
	v_pk_add_f32 v[164:165], v[60:61], v[164:165]
	v_mov_b32_e32 v79, v97
	v_mov_b32_e32 v97, v245
	v_pk_add_f32 v[96:97], v[96:97], v[164:165]
	v_pk_mul_f32 v[164:165], v[230:231], s[28:29] op_sel_hi:[1,0]
	v_pk_fma_f32 v[252:253], v[232:233], s[14:15], v[252:253] op_sel:[0,0,1] op_sel_hi:[1,0,0] neg_lo:[0,0,1] neg_hi:[0,0,1]
	v_pk_fma_f32 v[168:169], v[228:229], s[18:19], v[164:165] op_sel:[0,0,1] op_sel_hi:[1,0,0]
	v_pk_fma_f32 v[164:165], v[228:229], s[18:19], v[164:165] op_sel:[0,0,1] op_sel_hi:[1,0,0] neg_lo:[0,0,1] neg_hi:[0,0,1]
	v_mov_b32_e32 v83, v169
	v_mov_b32_e32 v169, v165
	v_pk_add_f32 v[96:97], v[168:169], v[96:97]
	v_pk_mul_f32 v[168:169], v[226:227], s[34:35] op_sel_hi:[1,0]
	v_mov_b32_e32 v248, v240
	v_pk_fma_f32 v[172:173], v[220:221], s[30:31], v[168:169] op_sel:[0,0,1] op_sel_hi:[1,0,0]
	v_pk_fma_f32 v[168:169], v[220:221], s[30:31], v[168:169] op_sel:[0,0,1] op_sel_hi:[1,0,0] neg_lo:[0,0,1] neg_hi:[0,0,1]
	v_mov_b32_e32 v87, v173
	v_mov_b32_e32 v173, v169
	v_pk_add_f32 v[96:97], v[172:173], v[96:97]
	v_pk_mul_f32 v[172:173], v[214:215], s[50:51] op_sel_hi:[1,0]
	v_mov_b32_e32 v249, v253
	;; [unrolled: 7-line block ×4, first 2 shown]
	v_pk_fma_f32 v[186:187], v[192:193], s[36:37], v[180:181] op_sel:[0,0,1] op_sel_hi:[1,0,0]
	v_pk_fma_f32 v[180:181], v[192:193], s[36:37], v[180:181] op_sel:[0,0,1] op_sel_hi:[1,0,0] neg_lo:[0,0,1] neg_hi:[0,0,1]
	v_mov_b32_e32 v153, v187
	v_mov_b32_e32 v187, v181
	v_pk_add_f32 v[96:97], v[186:187], v[96:97]
	v_pk_mul_f32 v[186:187], v[190:191], s[44:45] op_sel_hi:[1,0]
	v_accvgpr_write_b32 a4, v98
	v_pk_fma_f32 v[194:195], v[184:185], s[14:15], v[186:187] op_sel:[0,0,1] op_sel_hi:[1,0,0]
	v_pk_fma_f32 v[186:187], v[184:185], s[14:15], v[186:187] op_sel:[0,0,1] op_sel_hi:[1,0,0] neg_lo:[0,0,1] neg_hi:[0,0,1]
	v_mov_b32_e32 v157, v195
	v_mov_b32_e32 v195, v187
	v_pk_add_f32 v[96:97], v[194:195], v[96:97]
	v_pk_mul_f32 v[194:195], v[238:239], s[34:35] op_sel_hi:[1,0]
	v_accvgpr_write_b32 a5, v99
	v_pk_fma_f32 v[68:69], v[236:237], s[30:31], v[194:195] op_sel:[0,0,1] op_sel_hi:[1,0,0]
	v_pk_fma_f32 v[194:195], v[236:237], s[30:31], v[194:195] op_sel:[0,0,1] op_sel_hi:[1,0,0] neg_lo:[0,0,1] neg_hi:[0,0,1]
	v_mov_b32_e32 v64, v68
	v_mov_b32_e32 v65, v195
	v_pk_add_f32 v[64:65], v[60:61], v[64:65]
	v_mov_b32_e32 v68, v94
	v_pk_add_f32 v[64:65], v[248:249], v[64:65]
	v_pk_mul_f32 v[248:249], v[230:231], s[40:41] op_sel_hi:[1,0]
	v_mov_b32_e32 v3, v88
	v_pk_fma_f32 v[216:217], v[228:229], s[10:11], v[248:249] op_sel:[0,0,1] op_sel_hi:[1,0,0]
	v_pk_fma_f32 v[248:249], v[228:229], s[10:11], v[248:249] op_sel:[0,0,1] op_sel_hi:[1,0,0] neg_lo:[0,0,1] neg_hi:[0,0,1]
	v_mov_b32_e32 v222, v216
	v_mov_b32_e32 v223, v249
	v_pk_add_f32 v[64:65], v[222:223], v[64:65]
	v_pk_mul_f32 v[222:223], v[226:227], s[56:57] op_sel_hi:[1,0]
	v_mov_b32_e32 v67, v89
	v_pk_fma_f32 v[202:203], v[220:221], s[24:25], v[222:223] op_sel:[0,0,1] op_sel_hi:[1,0,0]
	v_pk_fma_f32 v[222:223], v[220:221], s[24:25], v[222:223] op_sel:[0,0,1] op_sel_hi:[1,0,0] neg_lo:[0,0,1] neg_hi:[0,0,1]
	v_mov_b32_e32 v210, v202
	v_mov_b32_e32 v211, v223
	v_pk_add_f32 v[64:65], v[210:211], v[64:65]
	v_pk_mul_f32 v[210:211], v[214:215], s[28:29] op_sel_hi:[1,0]
	v_accvgpr_write_b32 a8, v102
	v_pk_fma_f32 v[94:95], v[208:209], s[18:19], v[210:211] op_sel:[0,0,1] op_sel_hi:[1,0,0]
	v_pk_fma_f32 v[210:211], v[208:209], s[18:19], v[210:211] op_sel:[0,0,1] op_sel_hi:[1,0,0] neg_lo:[0,0,1] neg_hi:[0,0,1]
	v_mov_b32_e32 v160, v94
	v_mov_b32_e32 v161, v211
	v_pk_add_f32 v[64:65], v[160:161], v[64:65]
	v_pk_mul_f32 v[160:161], v[206:207], s[38:39] op_sel_hi:[1,0]
	v_accvgpr_write_b32 a9, v103
	;; [unrolled: 7-line block ×3, first 2 shown]
	v_pk_fma_f32 v[102:103], v[192:193], s[16:17], v[88:89] op_sel:[0,0,1] op_sel_hi:[1,0,0]
	v_pk_fma_f32 v[88:89], v[192:193], s[16:17], v[88:89] op_sel:[0,0,1] op_sel_hi:[1,0,0] neg_lo:[0,0,1] neg_hi:[0,0,1]
	v_accvgpr_write_b32 a7, v101
	v_mov_b32_e32 v100, v102
	v_mov_b32_e32 v101, v89
	v_pk_add_f32 v[64:65], v[100:101], v[64:65]
	v_pk_mul_f32 v[100:101], v[190:191], s[22:23] op_sel_hi:[1,0]
	v_accvgpr_write_b32 a12, v106
	v_accvgpr_write_b32 a13, v107
	v_pk_fma_f32 v[106:107], v[184:185], s[20:21], v[100:101] op_sel:[0,0,1] op_sel_hi:[1,0,0]
	v_pk_fma_f32 v[100:101], v[184:185], s[20:21], v[100:101] op_sel:[0,0,1] op_sel_hi:[1,0,0] neg_lo:[0,0,1] neg_hi:[0,0,1]
	v_accvgpr_write_b32 a10, v104
	v_accvgpr_write_b32 a11, v105
	v_mov_b32_e32 v104, v106
	v_mov_b32_e32 v105, v101
	v_pk_add_f32 v[64:65], v[104:105], v[64:65]
	ds_write2_b64 v90, v[96:97], v[64:65] offset0:6 offset1:7
	v_pk_mul_f32 v[64:65], v[238:239], s[38:39] op_sel_hi:[1,0]
	v_pk_mul_f32 v[104:105], v[234:235], s[46:47] op_sel_hi:[1,0]
	v_pk_fma_f32 v[96:97], v[236:237], s[36:37], v[64:65] op_sel:[0,0,1] op_sel_hi:[1,0,0]
	v_pk_fma_f32 v[64:65], v[236:237], s[36:37], v[64:65] op_sel:[0,0,1] op_sel_hi:[1,0,0] neg_lo:[0,0,1] neg_hi:[0,0,1]
	v_pk_fma_f32 v[234:235], v[232:233], s[18:19], v[104:105] op_sel:[0,0,1] op_sel_hi:[1,0,0]
	v_pk_fma_f32 v[104:105], v[232:233], s[18:19], v[104:105] op_sel:[0,0,1] op_sel_hi:[1,0,0] neg_lo:[0,0,1] neg_hi:[0,0,1]
	v_mov_b32_e32 v232, v96
	v_mov_b32_e32 v233, v65
	v_pk_add_f32 v[232:233], v[60:61], v[232:233]
	v_mov_b32_e32 v236, v234
	v_mov_b32_e32 v237, v105
	v_pk_mul_f32 v[230:231], v[230:231], s[34:35] op_sel_hi:[1,0]
	v_pk_add_f32 v[232:233], v[236:237], v[232:233]
	v_pk_fma_f32 v[236:237], v[228:229], s[30:31], v[230:231] op_sel:[0,0,1] op_sel_hi:[1,0,0]
	v_pk_fma_f32 v[228:229], v[228:229], s[30:31], v[230:231] op_sel:[0,0,1] op_sel_hi:[1,0,0] neg_lo:[0,0,1] neg_hi:[0,0,1]
	v_mov_b32_e32 v230, v236
	v_mov_b32_e32 v231, v229
	v_pk_mul_f32 v[226:227], v[226:227], s[48:49] op_sel_hi:[1,0]
	v_pk_add_f32 v[230:231], v[230:231], v[232:233]
	v_pk_fma_f32 v[232:233], v[220:221], s[16:17], v[226:227] op_sel:[0,0,1] op_sel_hi:[1,0,0]
	v_pk_fma_f32 v[220:221], v[220:221], s[16:17], v[226:227] op_sel:[0,0,1] op_sel_hi:[1,0,0] neg_lo:[0,0,1] neg_hi:[0,0,1]
	v_mov_b32_e32 v226, v232
	v_mov_b32_e32 v227, v221
	v_pk_mul_f32 v[214:215], v[214:215], s[26:27] op_sel_hi:[1,0]
	v_pk_add_f32 v[226:227], v[226:227], v[230:231]
	v_pk_fma_f32 v[230:231], v[208:209], s[24:25], v[214:215] op_sel:[0,0,1] op_sel_hi:[1,0,0]
	v_pk_fma_f32 v[208:209], v[208:209], s[24:25], v[214:215] op_sel:[0,0,1] op_sel_hi:[1,0,0] neg_lo:[0,0,1] neg_hi:[0,0,1]
	v_mov_b32_e32 v65, v97
	v_mov_b32_e32 v214, v230
	;; [unrolled: 1-line block ×3, first 2 shown]
	v_pk_mul_f32 v[206:207], v[206:207], s[44:45] op_sel_hi:[1,0]
	v_mov_b32_e32 v105, v235
	v_pk_add_f32 v[64:65], v[60:61], v[64:65]
	v_pk_add_f32 v[214:215], v[214:215], v[226:227]
	v_pk_fma_f32 v[226:227], v[200:201], s[14:15], v[206:207] op_sel:[0,0,1] op_sel_hi:[1,0,0]
	v_pk_fma_f32 v[200:201], v[200:201], s[14:15], v[206:207] op_sel:[0,0,1] op_sel_hi:[1,0,0] neg_lo:[0,0,1] neg_hi:[0,0,1]
	v_pk_add_f32 v[64:65], v[104:105], v[64:65]
	v_mov_b32_e32 v229, v237
	v_mov_b32_e32 v206, v226
	;; [unrolled: 1-line block ×3, first 2 shown]
	v_pk_mul_f32 v[198:199], v[198:199], s[22:23] op_sel_hi:[1,0]
	v_pk_add_f32 v[64:65], v[228:229], v[64:65]
	v_mov_b32_e32 v221, v233
	v_pk_add_f32 v[206:207], v[206:207], v[214:215]
	v_pk_fma_f32 v[214:215], v[192:193], s[20:21], v[198:199] op_sel:[0,0,1] op_sel_hi:[1,0,0]
	v_pk_fma_f32 v[192:193], v[192:193], s[20:21], v[198:199] op_sel:[0,0,1] op_sel_hi:[1,0,0] neg_lo:[0,0,1] neg_hi:[0,0,1]
	v_pk_add_f32 v[64:65], v[220:221], v[64:65]
	v_mov_b32_e32 v209, v231
	v_mov_b32_e32 v198, v214
	;; [unrolled: 1-line block ×3, first 2 shown]
	v_pk_mul_f32 v[190:191], v[190:191], s[50:51] op_sel_hi:[1,0]
	v_pk_add_f32 v[64:65], v[208:209], v[64:65]
	v_mov_b32_e32 v201, v227
	v_pk_add_f32 v[198:199], v[198:199], v[206:207]
	v_pk_fma_f32 v[206:207], v[184:185], s[10:11], v[190:191] op_sel:[0,0,1] op_sel_hi:[1,0,0]
	v_pk_fma_f32 v[184:185], v[184:185], s[10:11], v[190:191] op_sel:[0,0,1] op_sel_hi:[1,0,0] neg_lo:[0,0,1] neg_hi:[0,0,1]
	v_pk_add_f32 v[64:65], v[200:201], v[64:65]
	v_mov_b32_e32 v193, v215
	v_mov_b32_e32 v190, v206
	;; [unrolled: 1-line block ×3, first 2 shown]
	v_pk_add_f32 v[64:65], v[192:193], v[64:65]
	v_mov_b32_e32 v185, v207
	v_pk_add_f32 v[190:191], v[190:191], v[198:199]
	v_pk_add_f32 v[64:65], v[184:185], v[64:65]
	v_mov_b32_e32 v195, v69
	ds_write2_b64 v90, v[190:191], v[64:65] offset0:8 offset1:9
	v_mov_b32_e32 v253, v241
	v_pk_add_f32 v[64:65], v[60:61], v[194:195]
	v_mov_b32_e32 v249, v217
	v_pk_add_f32 v[64:65], v[252:253], v[64:65]
	;; [unrolled: 2-line block ×7, first 2 shown]
	v_mov_b32_e32 v88, v3
	v_mov_b32_e32 v3, v75
	v_pk_add_f32 v[2:3], v[60:61], v[2:3]
	v_mov_b32_e32 v165, v83
	v_pk_add_f32 v[2:3], v[244:245], v[2:3]
	;; [unrolled: 2-line block ×8, first 2 shown]
	v_pk_add_f32 v[2:3], v[186:187], v[2:3]
	v_mov_b32_e32 v75, v243
	ds_write2_b64 v90, v[64:65], v[2:3] offset0:10 offset1:11
	v_pk_add_f32 v[2:3], v[60:61], v[74:75]
	v_mov_b32_e32 v79, v247
	v_pk_add_f32 v[2:3], v[78:79], v[2:3]
	v_mov_b32_e32 v83, v251
	;; [unrolled: 2-line block ×3, first 2 shown]
	v_mov_b32_e32 v243, v179
	v_pk_add_f32 v[2:3], v[86:87], v[2:3]
	v_accvgpr_read_b32 v145, a47
	v_pk_add_f32 v[64:65], v[60:61], v[242:243]
	v_mov_b32_e32 v247, v183
	v_pk_add_f32 v[2:3], v[144:145], v[2:3]
	v_accvgpr_read_b32 v149, a49
	v_pk_add_f32 v[64:65], v[246:247], v[64:65]
	;; [unrolled: 4-line block ×3, first 2 shown]
	v_mov_b32_e32 v255, v197
	v_pk_add_f32 v[2:3], v[152:153], v[2:3]
	v_mov_b32_e32 v152, v1
	v_pk_add_f32 v[64:65], v[254:255], v[64:65]
	v_mov_b32_e32 v1, v205
	v_mov_b32_e32 v153, v63
	v_pk_add_f32 v[0:1], v[0:1], v[64:65]
	v_mov_b32_e32 v63, v213
	;; [unrolled: 3-line block ×3, first 2 shown]
	v_mov_b32_e32 v95, v71
	v_accvgpr_read_b32 v157, a53
	v_pk_add_f32 v[0:1], v[66:67], v[0:1]
	v_mov_b32_e32 v71, v225
	v_pk_add_f32 v[2:3], v[156:157], v[2:3]
	v_pk_add_f32 v[0:1], v[70:71], v[0:1]
	v_mov_b32_e32 v179, v147
	v_accvgpr_read_b32 v147, a31
	ds_write2_b64 v90, v[2:3], v[0:1] offset0:12 offset1:13
	v_pk_add_f32 v[0:1], v[60:61], v[178:179]
	v_mov_b32_e32 v183, v151
	v_pk_add_f32 v[2:3], v[60:61], v[146:147]
	v_accvgpr_read_b32 v151, a33
	v_pk_add_f32 v[0:1], v[182:183], v[0:1]
	v_mov_b32_e32 v189, v155
	v_pk_add_f32 v[2:3], v[150:151], v[2:3]
	v_accvgpr_read_b32 v155, a35
	;; [unrolled: 4-line block ×7, first 2 shown]
	v_pk_add_f32 v[0:1], v[224:225], v[0:1]
	v_pk_add_f32 v[2:3], v[174:175], v[2:3]
	ds_write2_b64 v90, v[0:1], v[2:3] offset0:14 offset1:15
	v_accvgpr_read_b32 v0, a14
	v_accvgpr_read_b32 v1, a15
	v_pk_add_f32 v[0:1], v[60:61], v[0:1]
	v_accvgpr_read_b32 v2, a16
	v_accvgpr_read_b32 v3, a17
	v_pk_add_f32 v[0:1], v[2:3], v[0:1]
	;; [unrolled: 3-line block ×3, first 2 shown]
	v_accvgpr_read_b32 v2, a20
	v_accvgpr_read_b32 v3, a21
	v_mov_b32_e32 v147, v77
	v_pk_add_f32 v[0:1], v[2:3], v[0:1]
	v_accvgpr_read_b32 v77, a23
	v_mov_b32_e32 v150, v81
	v_pk_add_f32 v[0:1], v[76:77], v[0:1]
	;; [unrolled: 3-line block ×4, first 2 shown]
	v_accvgpr_read_b32 v73, a29
	v_accvgpr_read_b32 v97, a3
	;; [unrolled: 1-line block ×7, first 2 shown]
	v_pk_add_f32 v[0:1], v[72:73], v[0:1]
	v_accvgpr_read_b32 v96, a2
	v_accvgpr_read_b32 v104, a10
	v_mov_b32_e32 v216, v240
	v_mov_b32_e32 v94, v68
	v_accvgpr_read_b32 v98, a4
	v_accvgpr_read_b32 v102, a8
	;; [unrolled: 1-line block ×5, first 2 shown]
	ds_write_b64 v90, v[0:1] offset:128
	v_accvgpr_read_b32 v90, a0
.LBB0_13:
	s_or_b64 exec, exec, s[0:1]
	v_add_u32_e32 v82, 0x800, v91
	s_waitcnt lgkmcnt(0)
	s_barrier
	ds_read2_b64 v[0:3], v82 offset0:152 offset1:203
	ds_read2_b64 v[60:63], v91 offset0:204 offset1:255
	ds_read_b64 v[64:65], v91 offset:5712
	v_add_u32_e32 v83, 0x1000, v91
	v_add_u32_e32 v84, 0xc00, v91
	s_waitcnt lgkmcnt(2)
	v_pk_mul_f32 v[20:21], v[20:21], v[2:3]
	s_waitcnt lgkmcnt(1)
	v_pk_mul_f32 v[4:5], v[4:5], v[62:63]
	v_pk_fma_f32 v[68:69], v[142:143], v[2:3], v[20:21] op_sel:[0,0,1] op_sel_hi:[1,1,0]
	v_pk_fma_f32 v[2:3], v[142:143], v[2:3], v[20:21] op_sel:[0,0,1] op_sel_hi:[1,1,0] neg_lo:[0,0,1] neg_hi:[0,0,1]
	s_mov_b32 s0, 0x3f5db3d7
	v_mov_b32_e32 v69, v3
	s_waitcnt lgkmcnt(0)
	v_pk_mul_f32 v[2:3], v[22:23], v[64:65]
	ds_read2_b64 v[20:23], v91 offset0:102 offset1:153
	v_pk_fma_f32 v[70:71], v[140:141], v[64:65], v[2:3] op_sel:[0,0,1] op_sel_hi:[1,1,0]
	v_pk_fma_f32 v[2:3], v[140:141], v[64:65], v[2:3] op_sel:[0,0,1] op_sel_hi:[1,1,0] neg_lo:[0,0,1] neg_hi:[0,0,1]
	ds_read2_b64 v[64:67], v83 offset0:100 offset1:151
	v_mov_b32_e32 v71, v3
	v_pk_add_f32 v[2:3], v[60:61], v[68:69]
	s_mov_b32 s14, 0x3f737871
	v_pk_add_f32 v[72:73], v[2:3], v[70:71]
	v_pk_mul_f32 v[2:3], v[16:17], v[0:1]
	s_waitcnt lgkmcnt(0)
	v_pk_mul_f32 v[16:17], v[18:19], v[66:67]
	v_pk_fma_f32 v[74:75], v[138:139], v[0:1], v[2:3] op_sel:[0,0,1] op_sel_hi:[1,1,0]
	v_pk_fma_f32 v[0:1], v[138:139], v[0:1], v[2:3] op_sel:[0,0,1] op_sel_hi:[1,1,0] neg_lo:[0,0,1] neg_hi:[0,0,1]
	v_pk_fma_f32 v[76:77], v[136:137], v[66:67], v[16:17] op_sel:[0,0,1] op_sel_hi:[1,1,0]
	v_mov_b32_e32 v75, v1
	ds_read2_b64 v[0:3], v82 offset0:50 offset1:101
	v_pk_fma_f32 v[16:17], v[136:137], v[66:67], v[16:17] op_sel:[0,0,1] op_sel_hi:[1,1,0] neg_lo:[0,0,1] neg_hi:[0,0,1]
	s_mov_b32 s16, 0x3f167918
	v_mov_b32_e32 v77, v17
	v_pk_add_f32 v[16:17], v[22:23], v[74:75]
	s_waitcnt lgkmcnt(0)
	v_pk_mul_f32 v[12:13], v[12:13], v[2:3]
	v_pk_add_f32 v[66:67], v[16:17], v[76:77]
	ds_read2_b64 v[16:19], v84 offset0:126 offset1:177
	v_pk_fma_f32 v[78:79], v[134:135], v[2:3], v[12:13] op_sel:[0,0,1] op_sel_hi:[1,1,0]
	v_pk_fma_f32 v[2:3], v[134:135], v[2:3], v[12:13] op_sel:[0,0,1] op_sel_hi:[1,1,0] neg_lo:[0,0,1] neg_hi:[0,0,1]
	v_pk_mul_f32 v[8:9], v[8:9], v[0:1]
	v_mov_b32_e32 v79, v3
	v_pk_mul_f32 v[2:3], v[14:15], v[64:65]
	ds_read2_b64 v[12:15], v91 offset1:51
	v_pk_fma_f32 v[80:81], v[132:133], v[64:65], v[2:3] op_sel:[0,0,1] op_sel_hi:[1,1,0]
	v_pk_fma_f32 v[2:3], v[132:133], v[64:65], v[2:3] op_sel:[0,0,1] op_sel_hi:[1,1,0] neg_lo:[0,0,1] neg_hi:[0,0,1]
	v_pk_fma_f32 v[64:65], v[130:131], v[0:1], v[8:9] op_sel:[0,0,1] op_sel_hi:[1,1,0]
	v_pk_fma_f32 v[0:1], v[130:131], v[0:1], v[8:9] op_sel:[0,0,1] op_sel_hi:[1,1,0] neg_lo:[0,0,1] neg_hi:[0,0,1]
	s_waitcnt lgkmcnt(0)
	v_mov_b32_e32 v65, v1
	v_pk_mul_f32 v[0:1], v[10:11], v[18:19]
	v_pk_fma_f32 v[10:11], v[126:127], v[62:63], v[4:5] op_sel:[0,0,1] op_sel_hi:[1,1,0]
	v_pk_fma_f32 v[4:5], v[126:127], v[62:63], v[4:5] op_sel:[0,0,1] op_sel_hi:[1,1,0] neg_lo:[0,0,1] neg_hi:[0,0,1]
	v_pk_fma_f32 v[8:9], v[128:129], v[18:19], v[0:1] op_sel:[0,0,1] op_sel_hi:[1,1,0]
	v_mov_b32_e32 v11, v5
	v_pk_mul_f32 v[4:5], v[6:7], v[16:17]
	v_pk_fma_f32 v[0:1], v[128:129], v[18:19], v[0:1] op_sel:[0,0,1] op_sel_hi:[1,1,0] neg_lo:[0,0,1] neg_hi:[0,0,1]
	v_pk_fma_f32 v[6:7], v[124:125], v[16:17], v[4:5] op_sel:[0,0,1] op_sel_hi:[1,1,0]
	v_pk_fma_f32 v[4:5], v[124:125], v[16:17], v[4:5] op_sel:[0,0,1] op_sel_hi:[1,1,0] neg_lo:[0,0,1] neg_hi:[0,0,1]
	v_mov_b32_e32 v9, v1
	v_mov_b32_e32 v7, v5
	v_pk_add_f32 v[4:5], v[12:13], v[10:11]
	v_pk_add_f32 v[16:17], v[10:11], v[6:7]
	;; [unrolled: 1-line block ×3, first 2 shown]
	v_pk_add_f32 v[6:7], v[10:11], v[6:7] neg_lo:[0,1] neg_hi:[0,1]
	v_pk_fma_f32 v[12:13], v[16:17], 0.5, v[12:13] op_sel_hi:[1,0,1] neg_lo:[1,0,0] neg_hi:[1,0,0]
	v_pk_mul_f32 v[6:7], v[6:7], s[0:1] op_sel_hi:[1,0]
	s_barrier
	v_pk_add_f32 v[10:11], v[12:13], v[6:7] op_sel:[0,1] op_sel_hi:[1,0] neg_lo:[0,1] neg_hi:[0,1]
	v_pk_add_f32 v[6:7], v[12:13], v[6:7] op_sel:[0,1] op_sel_hi:[1,0]
	v_mov_b32_e32 v12, v10
	v_mov_b32_e32 v13, v7
	;; [unrolled: 1-line block ×3, first 2 shown]
	ds_write2_b64 v151, v[4:5], v[12:13] offset1:17
	ds_write_b64 v151, v[6:7] offset:272
	v_pk_add_f32 v[4:5], v[64:65], v[8:9]
	v_pk_add_f32 v[6:7], v[64:65], v[8:9] neg_lo:[0,1] neg_hi:[0,1]
	v_pk_add_f32 v[0:1], v[14:15], v[64:65]
	v_pk_fma_f32 v[4:5], v[4:5], 0.5, v[14:15] op_sel_hi:[1,0,1] neg_lo:[1,0,0] neg_hi:[1,0,0]
	v_pk_mul_f32 v[6:7], v[6:7], s[0:1] op_sel_hi:[1,0]
	v_pk_add_f32 v[0:1], v[0:1], v[8:9]
	v_pk_add_f32 v[8:9], v[4:5], v[6:7] op_sel:[0,1] op_sel_hi:[1,0] neg_lo:[0,1] neg_hi:[0,1]
	v_pk_add_f32 v[4:5], v[4:5], v[6:7] op_sel:[0,1] op_sel_hi:[1,0]
	v_mov_b32_e32 v81, v3
	v_mov_b32_e32 v6, v8
	;; [unrolled: 1-line block ×4, first 2 shown]
	ds_write2_b64 v150, v[0:1], v[6:7] offset1:17
	ds_write_b64 v150, v[4:5] offset:272
	v_pk_add_f32 v[0:1], v[78:79], v[80:81]
	v_pk_add_f32 v[4:5], v[78:79], v[80:81] neg_lo:[0,1] neg_hi:[0,1]
	v_pk_fma_f32 v[0:1], v[0:1], 0.5, v[20:21] op_sel_hi:[1,0,1] neg_lo:[1,0,0] neg_hi:[1,0,0]
	v_pk_mul_f32 v[4:5], v[4:5], s[0:1] op_sel_hi:[1,0]
	v_pk_add_f32 v[2:3], v[20:21], v[78:79]
	v_pk_add_f32 v[6:7], v[0:1], v[4:5] op_sel:[0,1] op_sel_hi:[1,0] neg_lo:[0,1] neg_hi:[0,1]
	v_pk_add_f32 v[0:1], v[0:1], v[4:5] op_sel:[0,1] op_sel_hi:[1,0]
	v_pk_add_f32 v[2:3], v[2:3], v[80:81]
	v_mov_b32_e32 v4, v6
	v_mov_b32_e32 v5, v1
	;; [unrolled: 1-line block ×3, first 2 shown]
	ds_write2_b64 v147, v[2:3], v[4:5] offset1:17
	ds_write_b64 v147, v[0:1] offset:272
	v_pk_add_f32 v[0:1], v[74:75], v[76:77]
	v_pk_add_f32 v[2:3], v[74:75], v[76:77] neg_lo:[0,1] neg_hi:[0,1]
	v_pk_fma_f32 v[0:1], v[0:1], 0.5, v[22:23] op_sel_hi:[1,0,1] neg_lo:[1,0,0] neg_hi:[1,0,0]
	v_pk_mul_f32 v[2:3], v[2:3], s[0:1] op_sel_hi:[1,0]
	s_mov_b32 s10, 0x3e9e377a
	v_pk_add_f32 v[4:5], v[0:1], v[2:3] op_sel:[0,1] op_sel_hi:[1,0] neg_lo:[0,1] neg_hi:[0,1]
	v_pk_add_f32 v[0:1], v[0:1], v[2:3] op_sel:[0,1] op_sel_hi:[1,0]
	v_mov_b32_e32 v2, v4
	v_mov_b32_e32 v3, v1
	;; [unrolled: 1-line block ×3, first 2 shown]
	ds_write2_b64 v146, v[66:67], v[2:3] offset1:17
	ds_write_b64 v146, v[0:1] offset:272
	v_pk_add_f32 v[0:1], v[68:69], v[70:71]
	v_pk_add_f32 v[2:3], v[68:69], v[70:71] neg_lo:[0,1] neg_hi:[0,1]
	v_pk_fma_f32 v[0:1], v[0:1], 0.5, v[60:61] op_sel_hi:[1,0,1] neg_lo:[1,0,0] neg_hi:[1,0,0]
	v_pk_mul_f32 v[2:3], v[2:3], s[0:1] op_sel_hi:[1,0]
	s_nop 0
	v_pk_add_f32 v[4:5], v[0:1], v[2:3] op_sel:[0,1] op_sel_hi:[1,0] neg_lo:[0,1] neg_hi:[0,1]
	v_pk_add_f32 v[0:1], v[0:1], v[2:3] op_sel:[0,1] op_sel_hi:[1,0]
	v_mov_b32_e32 v2, v4
	v_mov_b32_e32 v3, v1
	;; [unrolled: 1-line block ×3, first 2 shown]
	ds_write2_b64 v145, v[72:73], v[2:3] offset1:17
	ds_write_b64 v145, v[0:1] offset:272
	s_waitcnt lgkmcnt(0)
	s_barrier
	ds_read2_b64 v[0:3], v91 offset0:102 offset1:153
	ds_read2_b64 v[4:7], v91 offset1:51
	ds_read2_b64 v[8:11], v82 offset0:50 offset1:101
	ds_read2_b64 v[12:15], v82 offset0:152 offset1:203
	;; [unrolled: 1-line block ×3, first 2 shown]
	s_waitcnt lgkmcnt(4)
	v_pk_mul_f32 v[20:21], v[28:29], v[2:3]
	s_nop 0
	v_pk_fma_f32 v[22:23], v[114:115], v[2:3], v[20:21] op_sel:[0,0,1] op_sel_hi:[1,1,0]
	v_pk_fma_f32 v[2:3], v[114:115], v[2:3], v[20:21] op_sel:[0,0,1] op_sel_hi:[1,1,0] neg_lo:[0,0,1] neg_hi:[0,0,1]
	s_nop 0
	v_mov_b32_e32 v23, v3
	s_waitcnt lgkmcnt(2)
	v_pk_mul_f32 v[2:3], v[30:31], v[8:9]
	s_nop 0
	v_pk_fma_f32 v[20:21], v[112:113], v[8:9], v[2:3] op_sel:[0,0,1] op_sel_hi:[1,1,0]
	v_pk_fma_f32 v[2:3], v[112:113], v[8:9], v[2:3] op_sel:[0,0,1] op_sel_hi:[1,1,0] neg_lo:[0,0,1] neg_hi:[0,0,1]
	s_nop 0
	v_mov_b32_e32 v21, v3
	s_waitcnt lgkmcnt(1)
	v_pk_mul_f32 v[2:3], v[24:25], v[14:15]
	v_pk_add_f32 v[68:69], v[22:23], v[20:21] neg_lo:[0,1] neg_hi:[0,1]
	v_pk_fma_f32 v[8:9], v[110:111], v[14:15], v[2:3] op_sel:[0,0,1] op_sel_hi:[1,1,0]
	v_pk_fma_f32 v[2:3], v[110:111], v[14:15], v[2:3] op_sel:[0,0,1] op_sel_hi:[1,1,0] neg_lo:[0,0,1] neg_hi:[0,0,1]
	s_nop 0
	v_mov_b32_e32 v9, v3
	s_waitcnt lgkmcnt(0)
	v_pk_mul_f32 v[2:3], v[26:27], v[16:17]
	v_pk_add_f32 v[64:65], v[20:21], v[8:9] neg_lo:[0,1] neg_hi:[0,1]
	v_pk_fma_f32 v[14:15], v[108:109], v[16:17], v[2:3] op_sel:[0,0,1] op_sel_hi:[1,1,0]
	v_pk_fma_f32 v[2:3], v[108:109], v[16:17], v[2:3] op_sel:[0,0,1] op_sel_hi:[1,1,0] neg_lo:[0,0,1] neg_hi:[0,0,1]
	v_pk_mul_f32 v[66:67], v[64:65], s[16:17] op_sel_hi:[1,0]
	v_mov_b32_e32 v15, v3
	v_pk_add_f32 v[2:3], v[4:5], v[22:23]
	v_pk_add_f32 v[16:17], v[22:23], v[14:15] neg_lo:[0,1] neg_hi:[0,1]
	v_pk_add_f32 v[2:3], v[2:3], v[20:21]
	v_pk_mul_f32 v[62:63], v[16:17], s[14:15] op_sel_hi:[1,0]
	v_pk_add_f32 v[2:3], v[2:3], v[8:9]
	v_pk_add_f32 v[70:71], v[14:15], v[8:9] neg_lo:[0,1] neg_hi:[0,1]
	v_pk_add_f32 v[60:61], v[2:3], v[14:15]
	v_pk_add_f32 v[2:3], v[20:21], v[8:9]
	;; [unrolled: 1-line block ×3, first 2 shown]
	v_pk_fma_f32 v[2:3], v[2:3], 0.5, v[4:5] op_sel_hi:[1,0,1] neg_lo:[1,0,0] neg_hi:[1,0,0]
	v_pk_add_f32 v[8:9], v[8:9], v[14:15] neg_lo:[0,1] neg_hi:[0,1]
	v_pk_add_f32 v[70:71], v[2:3], v[62:63] op_sel:[0,1] op_sel_hi:[1,0] neg_lo:[0,1] neg_hi:[0,1]
	v_pk_add_f32 v[2:3], v[2:3], v[62:63] op_sel:[0,1] op_sel_hi:[1,0]
	s_nop 0
	v_pk_add_f32 v[62:63], v[2:3], v[66:67] op_sel:[0,1] op_sel_hi:[1,0]
	v_pk_add_f32 v[66:67], v[70:71], v[66:67] op_sel:[0,1] op_sel_hi:[1,0] neg_lo:[0,1] neg_hi:[0,1]
	v_mov_b32_e32 v3, v63
	v_mov_b32_e32 v2, v66
	v_pk_fma_f32 v[70:71], v[68:69], s[10:11], v[2:3] op_sel_hi:[1,0,1]
	v_pk_add_f32 v[2:3], v[22:23], v[14:15]
	v_pk_mul_f32 v[14:15], v[16:17], s[16:17] op_sel_hi:[1,0]
	v_pk_fma_f32 v[2:3], v[2:3], 0.5, v[4:5] op_sel_hi:[1,0,1] neg_lo:[1,0,0] neg_hi:[1,0,0]
	v_pk_add_f32 v[4:5], v[20:21], v[22:23] neg_lo:[0,1] neg_hi:[0,1]
	v_mov_b32_e32 v63, v67
	v_pk_add_f32 v[4:5], v[4:5], v[8:9]
	v_pk_mul_f32 v[8:9], v[64:65], s[14:15] op_sel_hi:[1,0]
	v_pk_fma_f32 v[22:23], v[68:69], s[10:11], v[62:63] op_sel_hi:[1,0,1]
	v_pk_add_f32 v[16:17], v[2:3], v[8:9] op_sel:[0,1] op_sel_hi:[1,0]
	v_pk_add_f32 v[2:3], v[2:3], v[8:9] op_sel:[0,1] op_sel_hi:[1,0] neg_lo:[0,1] neg_hi:[0,1]
	v_pk_add_f32 v[8:9], v[16:17], v[14:15] op_sel:[0,1] op_sel_hi:[1,0] neg_lo:[0,1] neg_hi:[0,1]
	v_pk_add_f32 v[2:3], v[2:3], v[14:15] op_sel:[0,1] op_sel_hi:[1,0]
	v_mov_b32_e32 v14, v8
	v_mov_b32_e32 v15, v3
	;; [unrolled: 1-line block ×3, first 2 shown]
	v_pk_fma_f32 v[20:21], v[4:5], s[10:11], v[14:15] op_sel_hi:[1,0,1]
	v_pk_fma_f32 v[8:9], v[4:5], s[10:11], v[2:3] op_sel_hi:[1,0,1]
	ds_read2_b64 v[2:5], v91 offset0:204 offset1:255
	ds_read2_b64 v[14:17], v84 offset0:126 offset1:177
	ds_read_b64 v[62:63], v91 offset:5712
	s_waitcnt lgkmcnt(0)
	s_barrier
	v_pk_mul_f32 v[36:37], v[36:37], v[4:5]
	v_pk_mul_f32 v[28:29], v[28:29], v[2:3]
	v_pk_fma_f32 v[64:65], v[122:123], v[4:5], v[36:37] op_sel:[0,0,1] op_sel_hi:[1,1,0]
	v_pk_fma_f32 v[4:5], v[122:123], v[4:5], v[36:37] op_sel:[0,0,1] op_sel_hi:[1,1,0] neg_lo:[0,0,1] neg_hi:[0,0,1]
	ds_write2_b64 v91, v[60:61], v[70:71] offset1:51
	ds_write2_b64 v91, v[20:21], v[8:9] offset0:102 offset1:153
	v_mov_b32_e32 v65, v5
	v_pk_mul_f32 v[4:5], v[38:39], v[12:13]
	s_nop 0
	v_pk_fma_f32 v[36:37], v[120:121], v[12:13], v[4:5] op_sel:[0,0,1] op_sel_hi:[1,1,0]
	v_pk_fma_f32 v[4:5], v[120:121], v[12:13], v[4:5] op_sel:[0,0,1] op_sel_hi:[1,1,0] neg_lo:[0,0,1] neg_hi:[0,0,1]
	s_nop 0
	v_mov_b32_e32 v37, v5
	v_pk_mul_f32 v[4:5], v[32:33], v[16:17]
	v_pk_fma_f32 v[32:33], v[114:115], v[2:3], v[28:29] op_sel:[0,0,1] op_sel_hi:[1,1,0]
	v_pk_fma_f32 v[2:3], v[114:115], v[2:3], v[28:29] op_sel:[0,0,1] op_sel_hi:[1,1,0] neg_lo:[0,0,1] neg_hi:[0,0,1]
	v_pk_fma_f32 v[12:13], v[118:119], v[16:17], v[4:5] op_sel:[0,0,1] op_sel_hi:[1,1,0]
	v_mov_b32_e32 v33, v3
	v_pk_mul_f32 v[2:3], v[30:31], v[10:11]
	v_pk_add_f32 v[8:9], v[6:7], v[32:33]
	v_pk_fma_f32 v[28:29], v[112:113], v[10:11], v[2:3] op_sel:[0,0,1] op_sel_hi:[1,1,0]
	v_pk_fma_f32 v[2:3], v[112:113], v[10:11], v[2:3] op_sel:[0,0,1] op_sel_hi:[1,1,0] neg_lo:[0,0,1] neg_hi:[0,0,1]
	v_pk_fma_f32 v[4:5], v[118:119], v[16:17], v[4:5] op_sel:[0,0,1] op_sel_hi:[1,1,0] neg_lo:[0,0,1] neg_hi:[0,0,1]
	v_mov_b32_e32 v29, v3
	v_pk_mul_f32 v[2:3], v[24:25], v[14:15]
	v_pk_add_f32 v[8:9], v[8:9], v[28:29]
	v_pk_fma_f32 v[10:11], v[110:111], v[14:15], v[2:3] op_sel:[0,0,1] op_sel_hi:[1,1,0]
	v_pk_fma_f32 v[2:3], v[110:111], v[14:15], v[2:3] op_sel:[0,0,1] op_sel_hi:[1,1,0] neg_lo:[0,0,1] neg_hi:[0,0,1]
	v_mov_b32_e32 v13, v5
	v_mov_b32_e32 v11, v3
	v_pk_mul_f32 v[2:3], v[26:27], v[18:19]
	v_pk_add_f32 v[8:9], v[8:9], v[10:11]
	v_pk_fma_f32 v[14:15], v[108:109], v[18:19], v[2:3] op_sel:[0,0,1] op_sel_hi:[1,1,0]
	v_pk_fma_f32 v[2:3], v[108:109], v[18:19], v[2:3] op_sel:[0,0,1] op_sel_hi:[1,1,0] neg_lo:[0,0,1] neg_hi:[0,0,1]
	v_pk_add_f32 v[24:25], v[28:29], v[10:11] neg_lo:[0,1] neg_hi:[0,1]
	v_mov_b32_e32 v15, v3
	v_pk_add_f32 v[8:9], v[8:9], v[14:15]
	v_pk_add_f32 v[2:3], v[28:29], v[10:11]
	ds_write2_b64 v91, v[22:23], v[8:9] offset0:204 offset1:255
	v_pk_add_f32 v[8:9], v[32:33], v[14:15]
	v_pk_fma_f32 v[2:3], v[2:3], 0.5, v[6:7] op_sel_hi:[1,0,1] neg_lo:[1,0,0] neg_hi:[1,0,0]
	v_pk_add_f32 v[18:19], v[32:33], v[14:15] neg_lo:[0,1] neg_hi:[0,1]
	v_pk_add_f32 v[26:27], v[32:33], v[28:29] neg_lo:[0,1] neg_hi:[0,1]
	;; [unrolled: 1-line block ×3, first 2 shown]
	v_pk_fma_f32 v[6:7], v[8:9], 0.5, v[6:7] op_sel_hi:[1,0,1] neg_lo:[1,0,0] neg_hi:[1,0,0]
	v_pk_add_f32 v[8:9], v[28:29], v[32:33] neg_lo:[0,1] neg_hi:[0,1]
	v_pk_add_f32 v[10:11], v[10:11], v[14:15] neg_lo:[0,1] neg_hi:[0,1]
	v_pk_add_f32 v[26:27], v[26:27], v[30:31]
	v_pk_fma_f32 v[30:31], v[18:19], s[14:15], v[2:3] op_sel:[1,0,0] op_sel_hi:[0,0,1]
	v_pk_fma_f32 v[2:3], v[18:19], s[14:15], v[2:3] op_sel:[1,0,0] op_sel_hi:[0,0,1] neg_lo:[1,0,0] neg_hi:[1,0,0]
	v_pk_add_f32 v[8:9], v[8:9], v[10:11]
	v_pk_fma_f32 v[10:11], v[24:25], s[14:15], v[6:7] op_sel:[1,0,0] op_sel_hi:[0,0,1] neg_lo:[1,0,0] neg_hi:[1,0,0]
	v_pk_fma_f32 v[6:7], v[24:25], s[14:15], v[6:7] op_sel:[1,0,0] op_sel_hi:[0,0,1]
	v_pk_mul_f32 v[4:5], v[34:35], v[62:63]
	v_pk_fma_f32 v[2:3], v[24:25], s[16:17], v[2:3] op_sel:[1,0,0] op_sel_hi:[0,0,1] neg_lo:[1,0,0] neg_hi:[1,0,0]
	v_pk_fma_f32 v[30:31], v[24:25], s[16:17], v[30:31] op_sel:[1,0,0] op_sel_hi:[0,0,1]
	v_pk_fma_f32 v[6:7], v[18:19], s[16:17], v[6:7] op_sel:[1,0,0] op_sel_hi:[0,0,1] neg_lo:[1,0,0] neg_hi:[1,0,0]
	v_pk_fma_f32 v[10:11], v[18:19], s[16:17], v[10:11] op_sel:[1,0,0] op_sel_hi:[0,0,1]
	v_pk_fma_f32 v[16:17], v[116:117], v[62:63], v[4:5] op_sel:[0,0,1] op_sel_hi:[1,1,0]
	v_pk_fma_f32 v[4:5], v[116:117], v[62:63], v[4:5] op_sel:[0,0,1] op_sel_hi:[1,1,0] neg_lo:[0,0,1] neg_hi:[0,0,1]
	v_mov_b32_e32 v35, v3
	v_mov_b32_e32 v3, v31
	v_mov_b32_e32 v15, v7
	v_mov_b32_e32 v7, v11
	v_mov_b32_e32 v17, v5
	v_mov_b32_e32 v34, v30
	v_pk_fma_f32 v[2:3], v[26:27], s[10:11], v[2:3] op_sel_hi:[1,0,1]
	v_mov_b32_e32 v14, v10
	v_pk_fma_f32 v[6:7], v[8:9], s[10:11], v[6:7] op_sel_hi:[1,0,1]
	v_pk_fma_f32 v[34:35], v[26:27], s[10:11], v[34:35] op_sel_hi:[1,0,1]
	;; [unrolled: 1-line block ×3, first 2 shown]
	ds_write2_b64 v82, v[2:3], v[6:7] offset0:50 offset1:101
	ds_write2_b64 v82, v[14:15], v[34:35] offset0:152 offset1:203
	v_pk_add_f32 v[2:3], v[36:37], v[12:13]
	v_pk_add_f32 v[6:7], v[64:65], v[16:17] neg_lo:[0,1] neg_hi:[0,1]
	v_pk_fma_f32 v[2:3], v[2:3], 0.5, v[0:1] op_sel_hi:[1,0,1] neg_lo:[1,0,0] neg_hi:[1,0,0]
	v_pk_mul_f32 v[8:9], v[6:7], s[14:15] op_sel_hi:[1,0]
	v_pk_add_f32 v[10:11], v[36:37], v[12:13] neg_lo:[0,1] neg_hi:[0,1]
	v_pk_add_f32 v[18:19], v[64:65], v[36:37] neg_lo:[0,1] neg_hi:[0,1]
	;; [unrolled: 1-line block ×3, first 2 shown]
	v_pk_add_f32 v[4:5], v[0:1], v[64:65]
	v_pk_mul_f32 v[14:15], v[10:11], s[16:17] op_sel_hi:[1,0]
	v_pk_add_f32 v[18:19], v[18:19], v[20:21]
	v_pk_add_f32 v[20:21], v[2:3], v[8:9] op_sel:[0,1] op_sel_hi:[1,0] neg_lo:[0,1] neg_hi:[0,1]
	v_pk_add_f32 v[2:3], v[2:3], v[8:9] op_sel:[0,1] op_sel_hi:[1,0]
	v_pk_add_f32 v[4:5], v[4:5], v[36:37]
	v_pk_add_f32 v[2:3], v[2:3], v[14:15] op_sel:[0,1] op_sel_hi:[1,0]
	v_pk_add_f32 v[8:9], v[20:21], v[14:15] op_sel:[0,1] op_sel_hi:[1,0] neg_lo:[0,1] neg_hi:[0,1]
	v_pk_add_f32 v[4:5], v[4:5], v[12:13]
	v_mov_b32_e32 v14, v8
	v_mov_b32_e32 v15, v3
	v_pk_add_f32 v[4:5], v[4:5], v[16:17]
	v_pk_fma_f32 v[14:15], v[18:19], s[10:11], v[14:15] op_sel_hi:[1,0,1]
	v_add_u32_e32 v3, 0xc00, v152
	ds_write2_b64 v3, v[4:5], v[14:15] offset0:126 offset1:177
	v_pk_add_f32 v[4:5], v[64:65], v[16:17]
	v_pk_add_f32 v[12:13], v[12:13], v[16:17] neg_lo:[0,1] neg_hi:[0,1]
	v_pk_fma_f32 v[0:1], v[4:5], 0.5, v[0:1] op_sel_hi:[1,0,1] neg_lo:[1,0,0] neg_hi:[1,0,0]
	v_pk_add_f32 v[4:5], v[36:37], v[64:65] neg_lo:[0,1] neg_hi:[0,1]
	v_pk_mul_f32 v[10:11], v[10:11], s[14:15] op_sel_hi:[1,0]
	v_pk_add_f32 v[4:5], v[4:5], v[12:13]
	v_pk_mul_f32 v[6:7], v[6:7], s[16:17] op_sel_hi:[1,0]
	v_pk_add_f32 v[12:13], v[0:1], v[10:11] op_sel:[0,1] op_sel_hi:[1,0]
	v_pk_add_f32 v[0:1], v[0:1], v[10:11] op_sel:[0,1] op_sel_hi:[1,0] neg_lo:[0,1] neg_hi:[0,1]
	v_add_u32_e32 v3, 0x1000, v152
	v_pk_add_f32 v[0:1], v[0:1], v[6:7] op_sel:[0,1] op_sel_hi:[1,0]
	v_pk_add_f32 v[6:7], v[12:13], v[6:7] op_sel:[0,1] op_sel_hi:[1,0] neg_lo:[0,1] neg_hi:[0,1]
	v_mov_b32_e32 v11, v1
	v_mov_b32_e32 v10, v6
	;; [unrolled: 1-line block ×3, first 2 shown]
	v_pk_fma_f32 v[10:11], v[4:5], s[10:11], v[10:11] op_sel_hi:[1,0,1]
	v_pk_fma_f32 v[0:1], v[4:5], s[10:11], v[0:1] op_sel_hi:[1,0,1]
	ds_write2_b64 v3, v[10:11], v[0:1] offset0:100 offset1:151
	v_mov_b32_e32 v3, v9
	v_pk_fma_f32 v[0:1], v[18:19], s[10:11], v[2:3] op_sel_hi:[1,0,1]
	ds_write_b64 v152, v[0:1] offset:5712
	s_waitcnt lgkmcnt(0)
	s_barrier
	ds_read2_b64 v[0:3], v91 offset0:204 offset1:255
	ds_read2_b64 v[4:7], v91 offset1:51
	ds_read2_b64 v[8:11], v84 offset0:126 offset1:177
	s_movk_i32 s10, 0x1000
	s_waitcnt lgkmcnt(2)
	v_pk_mul_f32 v[12:13], v[56:57], v[2:3]
	s_nop 0
	v_pk_fma_f32 v[20:21], v[106:107], v[2:3], v[12:13] op_sel:[0,0,1] op_sel_hi:[1,1,0]
	v_pk_fma_f32 v[2:3], v[106:107], v[2:3], v[12:13] op_sel:[0,0,1] op_sel_hi:[1,1,0] neg_lo:[0,0,1] neg_hi:[0,0,1]
	ds_read2_b64 v[12:15], v82 offset0:50 offset1:101
	v_mov_b32_e32 v21, v3
	s_waitcnt lgkmcnt(1)
	v_pk_mul_f32 v[2:3], v[58:59], v[8:9]
	s_nop 0
	v_pk_fma_f32 v[22:23], v[104:105], v[8:9], v[2:3] op_sel:[0,0,1] op_sel_hi:[1,1,0]
	v_pk_fma_f32 v[2:3], v[104:105], v[8:9], v[2:3] op_sel:[0,0,1] op_sel_hi:[1,1,0] neg_lo:[0,0,1] neg_hi:[0,0,1]
	s_waitcnt lgkmcnt(0)
	v_pk_mul_f32 v[8:9], v[44:45], v[12:13] op_sel:[1,0]
	v_mov_b32_e32 v23, v3
	v_pk_fma_f32 v[24:25], v[44:45], v[12:13], v[8:9] op_sel:[0,0,1] op_sel_hi:[1,1,0]
	v_pk_fma_f32 v[8:9], v[44:45], v[12:13], v[8:9] op_sel:[0,0,1] op_sel_hi:[0,1,0] neg_lo:[0,0,1] neg_hi:[0,0,1]
	v_mov_b32_e32 v25, v9
	v_pk_mul_f32 v[8:9], v[46:47], v[10:11] op_sel:[1,0]
	v_pk_mul_f32 v[12:13], v[48:49], v[14:15]
	v_pk_fma_f32 v[26:27], v[46:47], v[10:11], v[8:9] op_sel:[0,0,1] op_sel_hi:[1,1,0]
	v_pk_fma_f32 v[8:9], v[46:47], v[10:11], v[8:9] op_sel:[0,0,1] op_sel_hi:[0,1,0] neg_lo:[0,0,1] neg_hi:[0,0,1]
	v_mov_b32_e32 v27, v9
	v_pk_add_f32 v[8:9], v[6:7], v[24:25]
	v_pk_fma_f32 v[30:31], v[102:103], v[14:15], v[12:13] op_sel:[0,0,1] op_sel_hi:[1,1,0]
	v_pk_add_f32 v[28:29], v[8:9], v[26:27]
	ds_read2_b64 v[8:11], v91 offset0:102 offset1:153
	ds_read2_b64 v[16:19], v83 offset0:100 offset1:151
	v_pk_fma_f32 v[12:13], v[102:103], v[14:15], v[12:13] op_sel:[0,0,1] op_sel_hi:[1,1,0] neg_lo:[0,0,1] neg_hi:[0,0,1]
	v_pk_add_f32 v[2:3], v[4:5], v[20:21]
	v_mov_b32_e32 v31, v13
	ds_read2_b64 v[12:15], v82 offset0:152 offset1:203
	s_waitcnt lgkmcnt(1)
	v_pk_mul_f32 v[32:33], v[50:51], v[16:17]
	v_pk_add_f32 v[2:3], v[2:3], v[22:23]
	v_pk_fma_f32 v[34:35], v[100:101], v[16:17], v[32:33] op_sel:[0,0,1] op_sel_hi:[1,1,0]
	v_pk_fma_f32 v[16:17], v[100:101], v[16:17], v[32:33] op_sel:[0,0,1] op_sel_hi:[1,1,0] neg_lo:[0,0,1] neg_hi:[0,0,1]
	s_waitcnt lgkmcnt(0)
	v_pk_mul_f32 v[32:33], v[40:41], v[12:13] op_sel:[1,0]
	v_pk_mul_f32 v[38:39], v[52:53], v[14:15]
	v_pk_fma_f32 v[36:37], v[40:41], v[12:13], v[32:33] op_sel:[0,0,1] op_sel_hi:[1,1,0]
	v_pk_fma_f32 v[12:13], v[40:41], v[12:13], v[32:33] op_sel:[0,0,1] op_sel_hi:[0,1,0] neg_lo:[0,0,1] neg_hi:[0,0,1]
	v_mov_b32_e32 v37, v13
	v_pk_mul_f32 v[12:13], v[42:43], v[18:19] op_sel:[1,0]
	v_pk_fma_f32 v[40:41], v[98:99], v[14:15], v[38:39] op_sel:[0,0,1] op_sel_hi:[1,1,0]
	v_pk_fma_f32 v[32:33], v[42:43], v[18:19], v[12:13] op_sel:[0,0,1] op_sel_hi:[1,1,0]
	v_pk_fma_f32 v[12:13], v[42:43], v[18:19], v[12:13] op_sel:[0,0,1] op_sel_hi:[0,1,0] neg_lo:[0,0,1] neg_hi:[0,0,1]
	ds_read_b64 v[18:19], v91 offset:5712
	v_pk_fma_f32 v[14:15], v[98:99], v[14:15], v[38:39] op_sel:[0,0,1] op_sel_hi:[1,1,0] neg_lo:[0,0,1] neg_hi:[0,0,1]
	ds_write2_b64 v93, v[2:3], v[28:29] offset1:51
	v_mov_b32_e32 v41, v15
	v_pk_add_f32 v[2:3], v[24:25], v[26:27]
	s_waitcnt lgkmcnt(1)
	v_pk_mul_f32 v[14:15], v[54:55], v[18:19]
	v_pk_fma_f32 v[2:3], v[2:3], 0.5, v[6:7] op_sel_hi:[1,0,1] neg_lo:[1,0,0] neg_hi:[1,0,0]
	v_pk_fma_f32 v[38:39], v[96:97], v[18:19], v[14:15] op_sel:[0,0,1] op_sel_hi:[1,1,0]
	v_pk_fma_f32 v[14:15], v[96:97], v[18:19], v[14:15] op_sel:[0,0,1] op_sel_hi:[1,1,0] neg_lo:[0,0,1] neg_hi:[0,0,1]
	v_pk_add_f32 v[18:19], v[20:21], v[22:23]
	v_pk_add_f32 v[6:7], v[24:25], v[26:27] neg_lo:[0,1] neg_hi:[0,1]
	v_pk_fma_f32 v[4:5], v[18:19], 0.5, v[4:5] op_sel_hi:[1,0,1] neg_lo:[1,0,0] neg_hi:[1,0,0]
	v_pk_add_f32 v[18:19], v[20:21], v[22:23] neg_lo:[0,1] neg_hi:[0,1]
	v_pk_mul_f32 v[6:7], v[6:7], s[0:1] op_sel_hi:[1,0]
	v_pk_mul_f32 v[18:19], v[18:19], s[0:1] op_sel_hi:[1,0]
	v_mov_b32_e32 v35, v17
	v_pk_add_f32 v[20:21], v[4:5], v[18:19] op_sel:[0,1] op_sel_hi:[1,0] neg_lo:[0,1] neg_hi:[0,1]
	v_pk_add_f32 v[4:5], v[4:5], v[18:19] op_sel:[0,1] op_sel_hi:[1,0]
	v_mov_b32_e32 v18, v20
	v_mov_b32_e32 v19, v5
	;; [unrolled: 1-line block ×3, first 2 shown]
	v_pk_add_f32 v[20:21], v[2:3], v[6:7] op_sel:[0,1] op_sel_hi:[1,0] neg_lo:[0,1] neg_hi:[0,1]
	v_pk_add_f32 v[2:3], v[2:3], v[6:7] op_sel:[0,1] op_sel_hi:[1,0]
	v_mov_b32_e32 v6, v20
	v_mov_b32_e32 v7, v3
	v_add_u32_e32 v3, 0x400, v93
	v_pk_add_f32 v[16:17], v[8:9], v[30:31]
	ds_write2_b64 v3, v[18:19], v[6:7] offset0:127 offset1:178
	v_mov_b32_e32 v3, v21
	v_add_u32_e32 v6, 0xc00, v93
	v_pk_add_f32 v[16:17], v[16:17], v[34:35]
	ds_write2_b64 v6, v[4:5], v[2:3] offset0:126 offset1:177
	ds_write_b64 v93, v[16:17] offset:816
	v_pk_add_f32 v[2:3], v[30:31], v[34:35]
	v_pk_add_f32 v[4:5], v[30:31], v[34:35] neg_lo:[0,1] neg_hi:[0,1]
	v_pk_fma_f32 v[2:3], v[2:3], 0.5, v[8:9] op_sel_hi:[1,0,1] neg_lo:[1,0,0] neg_hi:[1,0,0]
	v_pk_mul_f32 v[4:5], v[4:5], s[0:1] op_sel_hi:[1,0]
	v_mov_b32_e32 v33, v13
	v_pk_add_f32 v[6:7], v[2:3], v[4:5] op_sel:[0,1] op_sel_hi:[1,0] neg_lo:[0,1] neg_hi:[0,1]
	v_pk_add_f32 v[2:3], v[2:3], v[4:5] op_sel:[0,1] op_sel_hi:[1,0]
	v_pk_add_f32 v[12:13], v[10:11], v[36:37]
	v_mov_b32_e32 v4, v6
	v_mov_b32_e32 v5, v3
	;; [unrolled: 1-line block ×3, first 2 shown]
	v_add_u32_e32 v6, 0x7f8, v95
	v_pk_add_f32 v[12:13], v[12:13], v[32:33]
	ds_write2_b64 v6, v[4:5], v[2:3] offset1:255
	ds_write_b64 v93, v[12:13] offset:1224
	v_pk_add_f32 v[2:3], v[36:37], v[32:33]
	v_pk_add_f32 v[4:5], v[36:37], v[32:33] neg_lo:[0,1] neg_hi:[0,1]
	v_pk_fma_f32 v[2:3], v[2:3], 0.5, v[10:11] op_sel_hi:[1,0,1] neg_lo:[1,0,0] neg_hi:[1,0,0]
	v_pk_mul_f32 v[4:5], v[4:5], s[0:1] op_sel_hi:[1,0]
	v_mov_b32_e32 v39, v15
	v_pk_add_f32 v[6:7], v[2:3], v[4:5] op_sel:[0,1] op_sel_hi:[1,0] neg_lo:[0,1] neg_hi:[0,1]
	v_pk_add_f32 v[2:3], v[2:3], v[4:5] op_sel:[0,1] op_sel_hi:[1,0]
	v_pk_add_f32 v[14:15], v[0:1], v[40:41]
	v_mov_b32_e32 v4, v6
	v_mov_b32_e32 v5, v3
	;; [unrolled: 1-line block ×3, first 2 shown]
	v_add_u32_e32 v6, 0x7f8, v89
	v_pk_add_f32 v[14:15], v[14:15], v[38:39]
	ds_write2_b64 v6, v[4:5], v[2:3] offset1:255
	ds_write_b64 v93, v[14:15] offset:1632
	v_pk_add_f32 v[2:3], v[40:41], v[38:39]
	s_nop 0
	v_pk_fma_f32 v[0:1], v[2:3], 0.5, v[0:1] op_sel_hi:[1,0,1] neg_lo:[1,0,0] neg_hi:[1,0,0]
	v_pk_add_f32 v[2:3], v[40:41], v[38:39] neg_lo:[0,1] neg_hi:[0,1]
	s_nop 0
	v_pk_mul_f32 v[2:3], v[2:3], s[0:1] op_sel_hi:[1,0]
	s_nop 0
	v_pk_add_f32 v[4:5], v[0:1], v[2:3] op_sel:[0,1] op_sel_hi:[1,0] neg_lo:[0,1] neg_hi:[0,1]
	v_pk_add_f32 v[0:1], v[0:1], v[2:3] op_sel:[0,1] op_sel_hi:[1,0]
	v_mov_b32_e32 v2, v4
	v_mov_b32_e32 v3, v1
	;; [unrolled: 1-line block ×3, first 2 shown]
	v_add_u32_e32 v4, 0x7f8, v88
	ds_write2_b64 v4, v[2:3], v[0:1] offset1:255
	s_waitcnt lgkmcnt(0)
	s_barrier
	s_and_b64 exec, exec, s[2:3]
	s_cbranch_execz .LBB0_15
; %bb.14:
	global_load_dwordx2 v[0:1], v94, s[8:9]
	v_mad_u64_u32 v[4:5], s[0:1], s6, v92, 0
	ds_read_b64 v[6:7], v93
	v_mad_u64_u32 v[8:9], s[2:3], s4, v216, 0
	v_mov_b32_e32 v10, v5
	v_mov_b32_e32 v12, v9
	v_mad_u64_u32 v[10:11], s[2:3], s7, v92, v[10:11]
	v_mov_b32_e32 v2, s12
	v_mov_b32_e32 v3, s13
	;; [unrolled: 3-line block ×3, first 2 shown]
	v_lshl_add_u64 v[2:3], v[4:5], 3, v[2:3]
	v_lshl_add_u64 v[4:5], v[8:9], 3, v[2:3]
	s_mov_b32 s0, 0x156ac015
	s_mov_b32 s1, 0x3f556ac0
	v_lshl_add_u32 v10, v90, 3, v153
	v_mov_b32_e32 v11, 0x168
	s_mul_i32 s2, s5, 0x168
	v_mov_b32_e32 v95, 0
	s_waitcnt vmcnt(0) lgkmcnt(0)
	v_mul_f32_e32 v2, v7, v1
	v_mul_f32_e32 v1, v6, v1
	v_fmac_f32_e32 v2, v6, v0
	v_fma_f32 v3, v0, v7, -v1
	v_cvt_f64_f32_e32 v[0:1], v2
	v_cvt_f64_f32_e32 v[2:3], v3
	v_mul_f64 v[0:1], v[0:1], s[0:1]
	v_mul_f64 v[2:3], v[2:3], s[0:1]
	v_cvt_f32_f64_e32 v0, v[0:1]
	v_cvt_f32_f64_e32 v1, v[2:3]
	global_store_dwordx2 v[4:5], v[0:1], off
	global_load_dwordx2 v[6:7], v94, s[8:9] offset:360
	ds_read2_b64 v[0:3], v10 offset0:45 offset1:90
	v_mad_u64_u32 v[4:5], s[6:7], s4, v11, v[4:5]
	v_add_u32_e32 v5, s2, v5
	s_waitcnt vmcnt(0) lgkmcnt(0)
	v_mul_f32_e32 v8, v1, v7
	v_mul_f32_e32 v7, v0, v7
	v_fmac_f32_e32 v8, v0, v6
	v_fma_f32 v6, v6, v1, -v7
	v_cvt_f64_f32_e32 v[0:1], v8
	v_cvt_f64_f32_e32 v[6:7], v6
	v_mul_f64 v[0:1], v[0:1], s[0:1]
	v_mul_f64 v[6:7], v[6:7], s[0:1]
	v_cvt_f32_f64_e32 v0, v[0:1]
	v_cvt_f32_f64_e32 v1, v[6:7]
	global_store_dwordx2 v[4:5], v[0:1], off
	global_load_dwordx2 v[0:1], v94, s[8:9] offset:720
	v_mad_u64_u32 v[4:5], s[6:7], s4, v11, v[4:5]
	v_add_u32_e32 v5, s2, v5
	s_waitcnt vmcnt(0)
	v_mul_f32_e32 v6, v3, v1
	v_mul_f32_e32 v1, v2, v1
	v_fmac_f32_e32 v6, v2, v0
	v_fma_f32 v2, v0, v3, -v1
	v_cvt_f64_f32_e32 v[0:1], v6
	v_cvt_f64_f32_e32 v[2:3], v2
	v_mul_f64 v[0:1], v[0:1], s[0:1]
	v_mul_f64 v[2:3], v[2:3], s[0:1]
	v_cvt_f32_f64_e32 v0, v[0:1]
	v_cvt_f32_f64_e32 v1, v[2:3]
	global_store_dwordx2 v[4:5], v[0:1], off
	global_load_dwordx2 v[6:7], v94, s[8:9] offset:1080
	ds_read2_b64 v[0:3], v10 offset0:135 offset1:180
	v_mad_u64_u32 v[4:5], s[6:7], s4, v11, v[4:5]
	v_add_u32_e32 v5, s2, v5
	s_waitcnt vmcnt(0) lgkmcnt(0)
	v_mul_f32_e32 v8, v1, v7
	v_mul_f32_e32 v7, v0, v7
	v_fmac_f32_e32 v8, v0, v6
	v_fma_f32 v6, v6, v1, -v7
	v_cvt_f64_f32_e32 v[0:1], v8
	v_cvt_f64_f32_e32 v[6:7], v6
	v_mul_f64 v[0:1], v[0:1], s[0:1]
	v_mul_f64 v[6:7], v[6:7], s[0:1]
	v_cvt_f32_f64_e32 v0, v[0:1]
	v_cvt_f32_f64_e32 v1, v[6:7]
	global_store_dwordx2 v[4:5], v[0:1], off
	global_load_dwordx2 v[0:1], v94, s[8:9] offset:1440
	v_mad_u64_u32 v[4:5], s[6:7], s4, v11, v[4:5]
	v_add_u32_e32 v5, s2, v5
	s_waitcnt vmcnt(0)
	v_mul_f32_e32 v6, v3, v1
	v_mul_f32_e32 v1, v2, v1
	v_fmac_f32_e32 v6, v2, v0
	v_fma_f32 v2, v0, v3, -v1
	v_cvt_f64_f32_e32 v[0:1], v6
	v_cvt_f64_f32_e32 v[2:3], v2
	v_mul_f64 v[0:1], v[0:1], s[0:1]
	v_mul_f64 v[2:3], v[2:3], s[0:1]
	v_cvt_f32_f64_e32 v0, v[0:1]
	v_cvt_f32_f64_e32 v1, v[2:3]
	global_store_dwordx2 v[4:5], v[0:1], off
	global_load_dwordx2 v[6:7], v94, s[8:9] offset:1800
	v_add_u32_e32 v0, 0x400, v10
	ds_read2_b64 v[0:3], v0 offset0:97 offset1:142
	v_mad_u64_u32 v[4:5], s[6:7], s4, v11, v[4:5]
	v_add_u32_e32 v5, s2, v5
	s_waitcnt vmcnt(0) lgkmcnt(0)
	v_mul_f32_e32 v8, v1, v7
	v_mul_f32_e32 v7, v0, v7
	v_fmac_f32_e32 v8, v0, v6
	v_fma_f32 v6, v6, v1, -v7
	v_cvt_f64_f32_e32 v[0:1], v8
	v_cvt_f64_f32_e32 v[6:7], v6
	v_mul_f64 v[0:1], v[0:1], s[0:1]
	v_mul_f64 v[6:7], v[6:7], s[0:1]
	v_cvt_f32_f64_e32 v0, v[0:1]
	v_cvt_f32_f64_e32 v1, v[6:7]
	global_store_dwordx2 v[4:5], v[0:1], off
	global_load_dwordx2 v[0:1], v94, s[8:9] offset:2160
	v_mad_u64_u32 v[4:5], s[6:7], s4, v11, v[4:5]
	v_add_u32_e32 v5, s2, v5
	v_add_u32_e32 v8, 0x800, v10
	s_waitcnt vmcnt(0)
	v_mul_f32_e32 v6, v3, v1
	v_mul_f32_e32 v1, v2, v1
	v_fmac_f32_e32 v6, v2, v0
	v_fma_f32 v2, v0, v3, -v1
	v_cvt_f64_f32_e32 v[0:1], v6
	v_cvt_f64_f32_e32 v[2:3], v2
	v_mul_f64 v[0:1], v[0:1], s[0:1]
	v_mul_f64 v[2:3], v[2:3], s[0:1]
	v_cvt_f32_f64_e32 v0, v[0:1]
	v_cvt_f32_f64_e32 v1, v[2:3]
	global_store_dwordx2 v[4:5], v[0:1], off
	global_load_dwordx2 v[6:7], v94, s[8:9] offset:2520
	ds_read2_b64 v[0:3], v8 offset0:59 offset1:104
	v_mad_u64_u32 v[4:5], s[6:7], s4, v11, v[4:5]
	v_add_u32_e32 v5, s2, v5
	s_waitcnt vmcnt(0) lgkmcnt(0)
	v_mul_f32_e32 v9, v1, v7
	v_mul_f32_e32 v7, v0, v7
	v_fmac_f32_e32 v9, v0, v6
	v_fma_f32 v6, v6, v1, -v7
	v_cvt_f64_f32_e32 v[0:1], v9
	v_cvt_f64_f32_e32 v[6:7], v6
	v_mul_f64 v[0:1], v[0:1], s[0:1]
	v_mul_f64 v[6:7], v[6:7], s[0:1]
	v_cvt_f32_f64_e32 v0, v[0:1]
	v_cvt_f32_f64_e32 v1, v[6:7]
	global_store_dwordx2 v[4:5], v[0:1], off
	global_load_dwordx2 v[0:1], v94, s[8:9] offset:2880
	v_mad_u64_u32 v[4:5], s[6:7], s4, v11, v[4:5]
	v_add_u32_e32 v5, s2, v5
	s_waitcnt vmcnt(0)
	v_mul_f32_e32 v6, v3, v1
	v_mul_f32_e32 v1, v2, v1
	v_fmac_f32_e32 v6, v2, v0
	v_fma_f32 v2, v0, v3, -v1
	v_cvt_f64_f32_e32 v[0:1], v6
	v_cvt_f64_f32_e32 v[2:3], v2
	v_mul_f64 v[0:1], v[0:1], s[0:1]
	v_mul_f64 v[2:3], v[2:3], s[0:1]
	v_cvt_f32_f64_e32 v0, v[0:1]
	v_cvt_f32_f64_e32 v1, v[2:3]
	global_store_dwordx2 v[4:5], v[0:1], off
	global_load_dwordx2 v[6:7], v94, s[8:9] offset:3240
	ds_read2_b64 v[0:3], v8 offset0:149 offset1:194
	v_mad_u64_u32 v[4:5], s[6:7], s4, v11, v[4:5]
	v_add_u32_e32 v5, s2, v5
	s_waitcnt vmcnt(0) lgkmcnt(0)
	v_mul_f32_e32 v8, v1, v7
	v_mul_f32_e32 v7, v0, v7
	v_fmac_f32_e32 v8, v0, v6
	v_fma_f32 v6, v6, v1, -v7
	v_cvt_f64_f32_e32 v[0:1], v8
	v_cvt_f64_f32_e32 v[6:7], v6
	v_mul_f64 v[0:1], v[0:1], s[0:1]
	v_mul_f64 v[6:7], v[6:7], s[0:1]
	v_cvt_f32_f64_e32 v0, v[0:1]
	v_cvt_f32_f64_e32 v1, v[6:7]
	global_store_dwordx2 v[4:5], v[0:1], off
	global_load_dwordx2 v[0:1], v94, s[8:9] offset:3600
	v_mad_u64_u32 v[4:5], s[6:7], s4, v11, v[4:5]
	v_add_u32_e32 v5, s2, v5
	v_lshl_add_u64 v[8:9], s[8:9], 0, v[94:95]
	v_add_co_u32_e32 v8, vcc, s10, v8
	s_waitcnt vmcnt(0)
	v_mul_f32_e32 v6, v3, v1
	v_mul_f32_e32 v1, v2, v1
	v_fmac_f32_e32 v6, v2, v0
	v_fma_f32 v2, v0, v3, -v1
	v_cvt_f64_f32_e32 v[0:1], v6
	v_cvt_f64_f32_e32 v[2:3], v2
	v_mul_f64 v[0:1], v[0:1], s[0:1]
	v_mul_f64 v[2:3], v[2:3], s[0:1]
	v_cvt_f32_f64_e32 v0, v[0:1]
	v_cvt_f32_f64_e32 v1, v[2:3]
	global_store_dwordx2 v[4:5], v[0:1], off
	global_load_dwordx2 v[6:7], v94, s[8:9] offset:3960
	v_add_u32_e32 v0, 0xc00, v10
	ds_read2_b64 v[0:3], v0 offset0:111 offset1:156
	v_mad_u64_u32 v[4:5], s[6:7], s4, v11, v[4:5]
	v_add_u32_e32 v5, s2, v5
	v_addc_co_u32_e32 v9, vcc, 0, v9, vcc
	v_add_u32_e32 v10, 0x1000, v10
	s_waitcnt vmcnt(0) lgkmcnt(0)
	v_mul_f32_e32 v12, v1, v7
	v_mul_f32_e32 v7, v0, v7
	v_fmac_f32_e32 v12, v0, v6
	v_fma_f32 v6, v6, v1, -v7
	v_cvt_f64_f32_e32 v[0:1], v12
	v_cvt_f64_f32_e32 v[6:7], v6
	v_mul_f64 v[0:1], v[0:1], s[0:1]
	v_mul_f64 v[6:7], v[6:7], s[0:1]
	v_cvt_f32_f64_e32 v0, v[0:1]
	v_cvt_f32_f64_e32 v1, v[6:7]
	global_store_dwordx2 v[4:5], v[0:1], off
	global_load_dwordx2 v[0:1], v[8:9], off offset:224
	v_mad_u64_u32 v[4:5], s[6:7], s4, v11, v[4:5]
	v_add_u32_e32 v5, s2, v5
	s_waitcnt vmcnt(0)
	v_mul_f32_e32 v6, v3, v1
	v_mul_f32_e32 v1, v2, v1
	v_fmac_f32_e32 v6, v2, v0
	v_fma_f32 v2, v0, v3, -v1
	v_cvt_f64_f32_e32 v[0:1], v6
	v_cvt_f64_f32_e32 v[2:3], v2
	v_mul_f64 v[0:1], v[0:1], s[0:1]
	v_mul_f64 v[2:3], v[2:3], s[0:1]
	v_cvt_f32_f64_e32 v0, v[0:1]
	v_cvt_f32_f64_e32 v1, v[2:3]
	global_store_dwordx2 v[4:5], v[0:1], off
	global_load_dwordx2 v[6:7], v[8:9], off offset:584
	ds_read2_b64 v[0:3], v10 offset0:73 offset1:118
	v_mad_u64_u32 v[4:5], s[6:7], s4, v11, v[4:5]
	v_add_u32_e32 v5, s2, v5
	s_waitcnt vmcnt(0) lgkmcnt(0)
	v_mul_f32_e32 v12, v1, v7
	v_mul_f32_e32 v7, v0, v7
	v_fmac_f32_e32 v12, v0, v6
	v_fma_f32 v6, v6, v1, -v7
	v_cvt_f64_f32_e32 v[0:1], v12
	v_cvt_f64_f32_e32 v[6:7], v6
	v_mul_f64 v[0:1], v[0:1], s[0:1]
	v_mul_f64 v[6:7], v[6:7], s[0:1]
	v_cvt_f32_f64_e32 v0, v[0:1]
	v_cvt_f32_f64_e32 v1, v[6:7]
	global_store_dwordx2 v[4:5], v[0:1], off
	global_load_dwordx2 v[0:1], v[8:9], off offset:944
	v_mad_u64_u32 v[4:5], s[6:7], s4, v11, v[4:5]
	v_add_u32_e32 v5, s2, v5
	s_waitcnt vmcnt(0)
	v_mul_f32_e32 v6, v3, v1
	v_mul_f32_e32 v1, v2, v1
	v_fmac_f32_e32 v6, v2, v0
	v_fma_f32 v2, v0, v3, -v1
	v_cvt_f64_f32_e32 v[0:1], v6
	v_cvt_f64_f32_e32 v[2:3], v2
	v_mul_f64 v[0:1], v[0:1], s[0:1]
	v_mul_f64 v[2:3], v[2:3], s[0:1]
	v_cvt_f32_f64_e32 v0, v[0:1]
	v_cvt_f32_f64_e32 v1, v[2:3]
	global_store_dwordx2 v[4:5], v[0:1], off
	global_load_dwordx2 v[6:7], v[8:9], off offset:1304
	ds_read2_b64 v[0:3], v10 offset0:163 offset1:208
	v_mad_u64_u32 v[4:5], s[6:7], s4, v11, v[4:5]
	v_add_u32_e32 v5, s2, v5
	s_waitcnt vmcnt(0) lgkmcnt(0)
	v_mul_f32_e32 v10, v1, v7
	v_mul_f32_e32 v7, v0, v7
	v_fmac_f32_e32 v10, v0, v6
	v_fma_f32 v6, v6, v1, -v7
	v_cvt_f64_f32_e32 v[0:1], v10
	v_cvt_f64_f32_e32 v[6:7], v6
	v_mul_f64 v[0:1], v[0:1], s[0:1]
	v_mul_f64 v[6:7], v[6:7], s[0:1]
	v_cvt_f32_f64_e32 v0, v[0:1]
	v_cvt_f32_f64_e32 v1, v[6:7]
	global_store_dwordx2 v[4:5], v[0:1], off
	global_load_dwordx2 v[0:1], v[8:9], off offset:1664
	v_mad_u64_u32 v[4:5], s[4:5], s4, v11, v[4:5]
	v_add_u32_e32 v5, s2, v5
	s_waitcnt vmcnt(0)
	v_mul_f32_e32 v6, v3, v1
	v_mul_f32_e32 v1, v2, v1
	v_fmac_f32_e32 v6, v2, v0
	v_fma_f32 v2, v0, v3, -v1
	v_cvt_f64_f32_e32 v[0:1], v6
	v_cvt_f64_f32_e32 v[2:3], v2
	v_mul_f64 v[0:1], v[0:1], s[0:1]
	v_mul_f64 v[2:3], v[2:3], s[0:1]
	v_cvt_f32_f64_e32 v0, v[0:1]
	v_cvt_f32_f64_e32 v1, v[2:3]
	global_store_dwordx2 v[4:5], v[0:1], off
.LBB0_15:
	s_endpgm
	.section	.rodata,"a",@progbits
	.p2align	6, 0x0
	.amdhsa_kernel bluestein_single_back_len765_dim1_sp_op_CI_CI
		.amdhsa_group_segment_fixed_size 30600
		.amdhsa_private_segment_fixed_size 0
		.amdhsa_kernarg_size 104
		.amdhsa_user_sgpr_count 2
		.amdhsa_user_sgpr_dispatch_ptr 0
		.amdhsa_user_sgpr_queue_ptr 0
		.amdhsa_user_sgpr_kernarg_segment_ptr 1
		.amdhsa_user_sgpr_dispatch_id 0
		.amdhsa_user_sgpr_kernarg_preload_length 0
		.amdhsa_user_sgpr_kernarg_preload_offset 0
		.amdhsa_user_sgpr_private_segment_size 0
		.amdhsa_uses_dynamic_stack 0
		.amdhsa_enable_private_segment 0
		.amdhsa_system_sgpr_workgroup_id_x 1
		.amdhsa_system_sgpr_workgroup_id_y 0
		.amdhsa_system_sgpr_workgroup_id_z 0
		.amdhsa_system_sgpr_workgroup_info 0
		.amdhsa_system_vgpr_workitem_id 0
		.amdhsa_next_free_vgpr 310
		.amdhsa_next_free_sgpr 60
		.amdhsa_accum_offset 256
		.amdhsa_reserve_vcc 1
		.amdhsa_float_round_mode_32 0
		.amdhsa_float_round_mode_16_64 0
		.amdhsa_float_denorm_mode_32 3
		.amdhsa_float_denorm_mode_16_64 3
		.amdhsa_dx10_clamp 1
		.amdhsa_ieee_mode 1
		.amdhsa_fp16_overflow 0
		.amdhsa_tg_split 0
		.amdhsa_exception_fp_ieee_invalid_op 0
		.amdhsa_exception_fp_denorm_src 0
		.amdhsa_exception_fp_ieee_div_zero 0
		.amdhsa_exception_fp_ieee_overflow 0
		.amdhsa_exception_fp_ieee_underflow 0
		.amdhsa_exception_fp_ieee_inexact 0
		.amdhsa_exception_int_div_zero 0
	.end_amdhsa_kernel
	.text
.Lfunc_end0:
	.size	bluestein_single_back_len765_dim1_sp_op_CI_CI, .Lfunc_end0-bluestein_single_back_len765_dim1_sp_op_CI_CI
                                        ; -- End function
	.section	.AMDGPU.csdata,"",@progbits
; Kernel info:
; codeLenInByte = 19968
; NumSgprs: 66
; NumVgprs: 256
; NumAgprs: 54
; TotalNumVgprs: 310
; ScratchSize: 0
; MemoryBound: 0
; FloatMode: 240
; IeeeMode: 1
; LDSByteSize: 30600 bytes/workgroup (compile time only)
; SGPRBlocks: 8
; VGPRBlocks: 38
; NumSGPRsForWavesPerEU: 66
; NumVGPRsForWavesPerEU: 310
; AccumOffset: 256
; Occupancy: 1
; WaveLimiterHint : 1
; COMPUTE_PGM_RSRC2:SCRATCH_EN: 0
; COMPUTE_PGM_RSRC2:USER_SGPR: 2
; COMPUTE_PGM_RSRC2:TRAP_HANDLER: 0
; COMPUTE_PGM_RSRC2:TGID_X_EN: 1
; COMPUTE_PGM_RSRC2:TGID_Y_EN: 0
; COMPUTE_PGM_RSRC2:TGID_Z_EN: 0
; COMPUTE_PGM_RSRC2:TIDIG_COMP_CNT: 0
; COMPUTE_PGM_RSRC3_GFX90A:ACCUM_OFFSET: 63
; COMPUTE_PGM_RSRC3_GFX90A:TG_SPLIT: 0
	.text
	.p2alignl 6, 3212836864
	.fill 256, 4, 3212836864
	.type	__hip_cuid_897e35257c0576a,@object ; @__hip_cuid_897e35257c0576a
	.section	.bss,"aw",@nobits
	.globl	__hip_cuid_897e35257c0576a
__hip_cuid_897e35257c0576a:
	.byte	0                               ; 0x0
	.size	__hip_cuid_897e35257c0576a, 1

	.ident	"AMD clang version 19.0.0git (https://github.com/RadeonOpenCompute/llvm-project roc-6.4.0 25133 c7fe45cf4b819c5991fe208aaa96edf142730f1d)"
	.section	".note.GNU-stack","",@progbits
	.addrsig
	.addrsig_sym __hip_cuid_897e35257c0576a
	.amdgpu_metadata
---
amdhsa.kernels:
  - .agpr_count:     54
    .args:
      - .actual_access:  read_only
        .address_space:  global
        .offset:         0
        .size:           8
        .value_kind:     global_buffer
      - .actual_access:  read_only
        .address_space:  global
        .offset:         8
        .size:           8
        .value_kind:     global_buffer
      - .actual_access:  read_only
        .address_space:  global
        .offset:         16
        .size:           8
        .value_kind:     global_buffer
      - .actual_access:  read_only
        .address_space:  global
        .offset:         24
        .size:           8
        .value_kind:     global_buffer
      - .actual_access:  read_only
        .address_space:  global
        .offset:         32
        .size:           8
        .value_kind:     global_buffer
      - .offset:         40
        .size:           8
        .value_kind:     by_value
      - .address_space:  global
        .offset:         48
        .size:           8
        .value_kind:     global_buffer
      - .address_space:  global
        .offset:         56
        .size:           8
        .value_kind:     global_buffer
      - .address_space:  global
        .offset:         64
        .size:           8
        .value_kind:     global_buffer
      - .address_space:  global
        .offset:         72
        .size:           8
        .value_kind:     global_buffer
      - .offset:         80
        .size:           4
        .value_kind:     by_value
      - .address_space:  global
        .offset:         88
        .size:           8
        .value_kind:     global_buffer
      - .address_space:  global
        .offset:         96
        .size:           8
        .value_kind:     global_buffer
    .group_segment_fixed_size: 30600
    .kernarg_segment_align: 8
    .kernarg_segment_size: 104
    .language:       OpenCL C
    .language_version:
      - 2
      - 0
    .max_flat_workgroup_size: 255
    .name:           bluestein_single_back_len765_dim1_sp_op_CI_CI
    .private_segment_fixed_size: 0
    .sgpr_count:     66
    .sgpr_spill_count: 0
    .symbol:         bluestein_single_back_len765_dim1_sp_op_CI_CI.kd
    .uniform_work_group_size: 1
    .uses_dynamic_stack: false
    .vgpr_count:     310
    .vgpr_spill_count: 0
    .wavefront_size: 64
amdhsa.target:   amdgcn-amd-amdhsa--gfx950
amdhsa.version:
  - 1
  - 2
...

	.end_amdgpu_metadata
